;; amdgpu-corpus repo=ROCm/rocFFT kind=compiled arch=gfx1030 opt=O3
	.text
	.amdgcn_target "amdgcn-amd-amdhsa--gfx1030"
	.amdhsa_code_object_version 6
	.protected	bluestein_single_back_len845_dim1_sp_op_CI_CI ; -- Begin function bluestein_single_back_len845_dim1_sp_op_CI_CI
	.globl	bluestein_single_back_len845_dim1_sp_op_CI_CI
	.p2align	8
	.type	bluestein_single_back_len845_dim1_sp_op_CI_CI,@function
bluestein_single_back_len845_dim1_sp_op_CI_CI: ; @bluestein_single_back_len845_dim1_sp_op_CI_CI
; %bb.0:
	s_load_dwordx4 s[12:15], s[4:5], 0x28
	v_mul_u32_u24_e32 v1, 0x3f1, v0
	v_lshrrev_b32_e32 v1, 16, v1
	v_mad_u64_u32 v[84:85], null, s6, 3, v[1:2]
	v_mov_b32_e32 v85, 0
                                        ; kill: def $vgpr2 killed $sgpr0 killed $exec
	s_mov_b32 s0, exec_lo
	s_waitcnt lgkmcnt(0)
	v_cmpx_gt_u64_e64 s[12:13], v[84:85]
	s_cbranch_execz .LBB0_10
; %bb.1:
	s_clause 0x1
	s_load_dwordx4 s[8:11], s[4:5], 0x18
	s_load_dwordx4 s[0:3], s[4:5], 0x0
	v_mul_lo_u16 v1, 0x41, v1
	s_load_dwordx2 s[4:5], s[4:5], 0x38
	v_sub_nc_u16 v26, v0, v1
	v_and_b32_e32 v105, 0xffff, v26
	v_lshlrev_b32_e32 v29, 3, v105
	s_waitcnt lgkmcnt(0)
	s_load_dwordx4 s[16:19], s[8:9], 0x0
	s_clause 0x3
	global_load_dwordx2 v[95:96], v29, s[0:1]
	global_load_dwordx2 v[91:92], v29, s[0:1] offset:520
	global_load_dwordx2 v[93:94], v29, s[0:1] offset:1040
	;; [unrolled: 1-line block ×3, first 2 shown]
	v_add_co_u32 v58, s6, s0, v29
	v_add_co_ci_u32_e64 v59, null, s1, 0, s6
	s_waitcnt lgkmcnt(0)
	v_mad_u64_u32 v[0:1], null, s18, v84, 0
	v_mad_u64_u32 v[2:3], null, s16, v105, 0
	s_mul_i32 s0, s17, 0x208
	s_mul_hi_u32 s1, s16, 0x208
	s_mul_i32 s6, s16, 0x208
	s_add_i32 s1, s1, s0
	v_mad_u64_u32 v[4:5], null, s19, v84, v[1:2]
	v_mad_u64_u32 v[5:6], null, s17, v105, v[3:4]
	v_mov_b32_e32 v1, v4
	v_add_co_u32 v6, vcc_lo, 0x800, v58
	v_add_co_ci_u32_e32 v7, vcc_lo, 0, v59, vcc_lo
	v_add_co_u32 v8, vcc_lo, 0x1000, v58
	v_mov_b32_e32 v3, v5
	v_lshlrev_b64 v[0:1], 3, v[0:1]
	v_add_co_ci_u32_e32 v9, vcc_lo, 0, v59, vcc_lo
	v_add_co_u32 v56, vcc_lo, 0x1800, v58
	v_add_co_ci_u32_e32 v57, vcc_lo, 0, v59, vcc_lo
	v_lshlrev_b64 v[2:3], 3, v[2:3]
	v_add_co_u32 v0, vcc_lo, s14, v0
	v_add_co_ci_u32_e32 v1, vcc_lo, s15, v1, vcc_lo
	s_clause 0x3
	global_load_dwordx2 v[101:102], v[6:7], off offset:32
	global_load_dwordx2 v[99:100], v[6:7], off offset:552
	;; [unrolled: 1-line block ×4, first 2 shown]
	v_add_co_u32 v0, vcc_lo, v0, v2
	v_add_co_ci_u32_e32 v1, vcc_lo, v1, v3, vcc_lo
	s_clause 0x2
	global_load_dwordx2 v[80:81], v[8:9], off offset:64
	global_load_dwordx2 v[78:79], v[8:9], off offset:584
	global_load_dwordx2 v[76:77], v[8:9], off offset:1104
	v_add_co_u32 v2, vcc_lo, v0, s6
	v_add_co_ci_u32_e32 v3, vcc_lo, s1, v1, vcc_lo
	global_load_dwordx2 v[0:1], v[0:1], off
	v_add_co_u32 v4, vcc_lo, v2, s6
	v_add_co_ci_u32_e32 v5, vcc_lo, s1, v3, vcc_lo
	global_load_dwordx2 v[2:3], v[2:3], off
	v_add_co_u32 v6, vcc_lo, v4, s6
	v_add_co_ci_u32_e32 v7, vcc_lo, s1, v5, vcc_lo
	v_add_co_u32 v10, vcc_lo, v6, s6
	v_add_co_ci_u32_e32 v11, vcc_lo, s1, v7, vcc_lo
	;; [unrolled: 2-line block ×3, first 2 shown]
	s_clause 0x2
	global_load_dwordx2 v[4:5], v[4:5], off
	global_load_dwordx2 v[6:7], v[6:7], off
	;; [unrolled: 1-line block ×3, first 2 shown]
	v_add_co_u32 v14, vcc_lo, v12, s6
	v_add_co_ci_u32_e32 v15, vcc_lo, s1, v13, vcc_lo
	global_load_dwordx2 v[12:13], v[12:13], off
	v_add_co_u32 v16, vcc_lo, v14, s6
	v_add_co_ci_u32_e32 v17, vcc_lo, s1, v15, vcc_lo
	global_load_dwordx2 v[14:15], v[14:15], off
	v_add_co_u32 v18, vcc_lo, v16, s6
	v_add_co_ci_u32_e32 v19, vcc_lo, s1, v17, vcc_lo
	global_load_dwordx2 v[16:17], v[16:17], off
	v_add_co_u32 v20, vcc_lo, v18, s6
	v_add_co_ci_u32_e32 v21, vcc_lo, s1, v19, vcc_lo
	global_load_dwordx2 v[18:19], v[18:19], off
	v_add_co_u32 v22, vcc_lo, v20, s6
	v_add_co_ci_u32_e32 v23, vcc_lo, s1, v21, vcc_lo
	global_load_dwordx2 v[20:21], v[20:21], off
	v_add_co_u32 v24, vcc_lo, v22, s6
	v_add_co_ci_u32_e32 v25, vcc_lo, s1, v23, vcc_lo
	global_load_dwordx2 v[22:23], v[22:23], off
	v_add_co_u32 v27, vcc_lo, v24, s6
	v_add_co_ci_u32_e32 v28, vcc_lo, s1, v25, vcc_lo
	global_load_dwordx2 v[82:83], v[8:9], off offset:1624
	global_load_dwordx2 v[8:9], v[24:25], off
	global_load_dwordx2 v[85:86], v[56:57], off offset:96
	global_load_dwordx2 v[24:25], v[27:28], off
	v_mul_hi_u32 v27, 0xaaaaaaab, v84
	s_load_dwordx4 s[8:11], s[10:11], 0x0
	v_cmp_gt_u16_e32 vcc_lo, 39, v26
	v_lshrrev_b32_e32 v27, 1, v27
	v_lshl_add_u32 v27, v27, 1, v27
	v_sub_nc_u32_e32 v27, v84, v27
	v_mul_u32_u24_e32 v27, 0x34d, v27
	v_lshlrev_b32_e32 v107, 3, v27
	v_add_nc_u32_e32 v106, v29, v107
	v_add_nc_u32_e32 v30, 0x800, v106
	;; [unrolled: 1-line block ×3, first 2 shown]
	s_waitcnt vmcnt(14)
	v_mul_f32_e32 v28, v1, v96
	v_mul_f32_e32 v29, v0, v96
	s_waitcnt vmcnt(13)
	v_mul_f32_e32 v31, v3, v92
	v_fmac_f32_e32 v28, v0, v95
	v_fma_f32 v29, v1, v95, -v29
	v_mul_f32_e32 v1, v2, v92
	v_fmac_f32_e32 v31, v2, v91
	v_fma_f32 v32, v3, v91, -v1
	s_waitcnt vmcnt(12)
	v_mul_f32_e32 v0, v5, v94
	v_mul_f32_e32 v33, v4, v94
	s_waitcnt vmcnt(11)
	v_mul_f32_e32 v2, v7, v90
	v_mul_f32_e32 v34, v6, v90
	ds_write2_b64 v106, v[28:29], v[31:32] offset1:65
	v_fmac_f32_e32 v0, v4, v93
	v_fma_f32 v1, v5, v93, -v33
	v_fmac_f32_e32 v2, v6, v89
	v_fma_f32 v3, v7, v89, -v34
	s_waitcnt vmcnt(10)
	v_mul_f32_e32 v5, v10, v102
	v_mul_f32_e32 v4, v11, v102
	s_waitcnt vmcnt(9)
	v_mul_f32_e32 v6, v13, v100
	ds_write2_b64 v106, v[0:1], v[2:3] offset0:130 offset1:195
	v_fma_f32 v5, v11, v101, -v5
	v_mul_f32_e32 v1, v12, v100
	s_waitcnt vmcnt(8)
	v_mul_f32_e32 v3, v14, v98
	s_waitcnt vmcnt(7)
	v_mul_f32_e32 v11, v16, v88
	v_mul_f32_e32 v0, v15, v98
	;; [unrolled: 1-line block ×3, first 2 shown]
	v_fmac_f32_e32 v4, v10, v101
	v_fma_f32 v7, v13, v99, -v1
	v_fma_f32 v1, v15, v97, -v3
	s_waitcnt vmcnt(6)
	v_mul_f32_e32 v10, v19, v81
	v_fma_f32 v3, v17, v87, -v11
	v_mul_f32_e32 v11, v18, v81
	v_fmac_f32_e32 v6, v12, v99
	s_waitcnt vmcnt(5)
	v_mul_f32_e32 v12, v21, v79
	v_mul_f32_e32 v13, v20, v79
	v_fmac_f32_e32 v0, v14, v97
	v_fmac_f32_e32 v2, v16, v87
	;; [unrolled: 1-line block ×3, first 2 shown]
	s_waitcnt vmcnt(4)
	v_mul_f32_e32 v14, v23, v77
	v_mul_f32_e32 v15, v22, v77
	v_fma_f32 v11, v19, v80, -v11
	s_waitcnt vmcnt(2)
	v_mul_f32_e32 v16, v9, v83
	v_mul_f32_e32 v17, v8, v83
	s_waitcnt vmcnt(0)
	v_mul_f32_e32 v18, v25, v86
	v_mul_f32_e32 v19, v24, v86
	v_fmac_f32_e32 v12, v20, v78
	v_fma_f32 v13, v21, v78, -v13
	v_fmac_f32_e32 v14, v22, v76
	v_fma_f32 v15, v23, v76, -v15
	;; [unrolled: 2-line block ×4, first 2 shown]
	ds_write2_b64 v30, v[4:5], v[6:7] offset0:4 offset1:69
	ds_write2_b64 v30, v[0:1], v[2:3] offset0:134 offset1:199
	;; [unrolled: 1-line block ×4, first 2 shown]
	ds_write_b64 v106, v[18:19] offset:6240
	s_waitcnt lgkmcnt(0)
	s_barrier
	buffer_gl0_inv
	ds_read2_b64 v[0:3], v106 offset1:65
	ds_read_b64 v[24:25], v106 offset:6240
	ds_read2_b64 v[8:11], v30 offset0:4 offset1:69
	ds_read2_b64 v[4:7], v27 offset0:8 offset1:73
	;; [unrolled: 1-line block ×5, first 2 shown]
	s_waitcnt lgkmcnt(0)
	s_barrier
	buffer_gl0_inv
	v_add_f32_e32 v38, v1, v3
	v_add_f32_e32 v28, v0, v2
	v_sub_f32_e32 v37, v2, v24
	v_sub_f32_e32 v29, v3, v25
	v_add_f32_e32 v40, v25, v3
	v_add_f32_e32 v46, v15, v17
	v_sub_f32_e32 v48, v17, v15
	v_add_f32_e32 v17, v38, v17
	v_add_f32_e32 v45, v14, v16
	v_sub_f32_e32 v47, v16, v14
	v_mul_f32_e32 v54, 0xbeedf032, v37
	v_mul_f32_e32 v60, 0xbf52af12, v37
	;; [unrolled: 1-line block ×6, first 2 shown]
	v_add_f32_e32 v16, v28, v16
	v_add_f32_e32 v17, v17, v19
	;; [unrolled: 1-line block ×4, first 2 shown]
	v_sub_f32_e32 v44, v9, v7
	v_sub_f32_e32 v51, v18, v12
	;; [unrolled: 1-line block ×3, first 2 shown]
	v_mul_f32_e32 v53, 0xbeedf032, v29
	v_mul_f32_e32 v55, 0xbf52af12, v29
	v_mul_f32_e32 v61, 0xbf7e222b, v29
	v_mul_f32_e32 v63, 0xbf6f5d39, v29
	v_mul_f32_e32 v65, 0xbf29c268, v29
	v_mul_f32_e32 v29, 0xbe750f2a, v29
	v_mul_f32_e32 v28, 0xbf52af12, v48
	v_mul_f32_e32 v38, 0xbf52af12, v47
	v_mul_f32_e32 v75, 0xbf6f5d39, v48
	v_mul_f32_e32 v103, 0xbf6f5d39, v47
	v_mul_f32_e32 v115, 0xbe750f2a, v48
	v_mul_f32_e32 v116, 0xbe750f2a, v47
	v_mul_f32_e32 v125, 0x3f29c268, v48
	v_mul_f32_e32 v126, 0x3f7e222b, v48
	v_mul_f32_e32 v48, 0x3eedf032, v48
	v_mul_f32_e32 v127, 0x3f29c268, v47
	v_mul_f32_e32 v128, 0x3f7e222b, v47
	v_mul_f32_e32 v47, 0x3eedf032, v47
	v_fmamk_f32 v140, v40, 0x3f62ad3f, v54
	v_fma_f32 v54, 0x3f62ad3f, v40, -v54
	v_fmamk_f32 v142, v40, 0x3f116cb1, v60
	v_fma_f32 v60, 0x3f116cb1, v40, -v60
	v_fmamk_f32 v144, v40, 0x3df6dbef, v62
	v_fma_f32 v62, 0x3df6dbef, v40, -v62
	v_fmamk_f32 v146, v40, 0xbeb58ec6, v64
	v_fma_f32 v64, 0xbeb58ec6, v40, -v64
	v_fmamk_f32 v148, v40, 0xbf3f9e67, v66
	v_fma_f32 v66, 0xbf3f9e67, v40, -v66
	v_fmamk_f32 v150, v40, 0xbf788fa5, v37
	v_fma_f32 v37, 0xbf788fa5, v40, -v37
	v_add_f32_e32 v16, v16, v18
	v_add_f32_e32 v9, v17, v9
	;; [unrolled: 1-line block ×3, first 2 shown]
	v_sub_f32_e32 v43, v8, v6
	v_add_f32_e32 v49, v12, v18
	v_add_f32_e32 v50, v13, v19
	v_mul_f32_e32 v67, 0xbf7e222b, v52
	v_mul_f32_e32 v68, 0xbf7e222b, v51
	;; [unrolled: 1-line block ×12, first 2 shown]
	v_fma_f32 v139, 0x3f62ad3f, v39, -v53
	v_fmac_f32_e32 v53, 0x3f62ad3f, v39
	v_fma_f32 v141, 0x3f116cb1, v39, -v55
	v_fmac_f32_e32 v55, 0x3f116cb1, v39
	;; [unrolled: 2-line block ×6, first 2 shown]
	v_fma_f32 v18, 0x3f116cb1, v45, -v28
	v_fmamk_f32 v19, v46, 0x3f116cb1, v38
	v_fmac_f32_e32 v28, 0x3f116cb1, v45
	v_fma_f32 v38, 0x3f116cb1, v46, -v38
	v_fma_f32 v157, 0xbeb58ec6, v45, -v75
	v_fmamk_f32 v158, v46, 0xbeb58ec6, v103
	v_fmac_f32_e32 v75, 0xbeb58ec6, v45
	v_fma_f32 v103, 0xbeb58ec6, v46, -v103
	;; [unrolled: 4-line block ×3, first 2 shown]
	v_fmac_f32_e32 v125, 0xbf3f9e67, v45
	v_fma_f32 v178, 0x3df6dbef, v45, -v126
	v_fmac_f32_e32 v126, 0x3df6dbef, v45
	v_fma_f32 v179, 0x3f62ad3f, v45, -v48
	;; [unrolled: 2-line block ×3, first 2 shown]
	v_fmamk_f32 v116, v46, 0xbf3f9e67, v127
	v_fma_f32 v127, 0xbf3f9e67, v46, -v127
	v_fmamk_f32 v180, v46, 0x3df6dbef, v128
	v_fma_f32 v128, 0x3df6dbef, v46, -v128
	;; [unrolled: 2-line block ×3, first 2 shown]
	v_add_f32_e32 v140, v1, v140
	v_add_f32_e32 v54, v1, v54
	v_add_f32_e32 v142, v1, v142
	v_add_f32_e32 v60, v1, v60
	v_add_f32_e32 v144, v1, v144
	v_add_f32_e32 v62, v1, v62
	v_add_f32_e32 v146, v1, v146
	v_add_f32_e32 v64, v1, v64
	v_add_f32_e32 v148, v1, v148
	v_add_f32_e32 v66, v1, v66
	v_add_f32_e32 v8, v16, v8
	v_add_f32_e32 v16, v1, v150
	v_add_f32_e32 v1, v1, v37
	v_add_f32_e32 v9, v9, v11
	v_fma_f32 v39, 0x3df6dbef, v49, -v67
	v_fmamk_f32 v40, v50, 0x3df6dbef, v68
	v_fmac_f32_e32 v67, 0x3df6dbef, v49
	v_fma_f32 v68, 0x3df6dbef, v50, -v68
	v_fma_f32 v159, 0xbf788fa5, v49, -v104
	v_fmamk_f32 v160, v50, 0xbf788fa5, v108
	v_fmac_f32_e32 v104, 0xbf788fa5, v49
	v_fma_f32 v108, 0xbf788fa5, v50, -v108
	;; [unrolled: 4-line block ×3, first 2 shown]
	v_fmac_f32_e32 v129, 0x3f62ad3f, v49
	v_fma_f32 v182, 0x3f116cb1, v49, -v130
	v_fmac_f32_e32 v130, 0x3f116cb1, v49
	v_fma_f32 v183, 0xbf3f9e67, v49, -v52
	;; [unrolled: 2-line block ×3, first 2 shown]
	v_fmamk_f32 v118, v50, 0x3f62ad3f, v131
	v_fma_f32 v131, 0x3f62ad3f, v50, -v131
	v_fmamk_f32 v184, v50, 0x3f116cb1, v132
	v_fma_f32 v132, 0x3f116cb1, v50, -v132
	;; [unrolled: 2-line block ×3, first 2 shown]
	v_add_f32_e32 v139, v0, v139
	v_add_f32_e32 v53, v0, v53
	;; [unrolled: 1-line block ×17, first 2 shown]
	v_sub_f32_e32 v31, v10, v4
	v_sub_f32_e32 v32, v11, v5
	v_mul_f32_e32 v70, 0xbf6f5d39, v43
	v_mul_f32_e32 v110, 0x3f29c268, v43
	v_add_f32_e32 v10, v18, v139
	v_add_f32_e32 v11, v19, v140
	;; [unrolled: 1-line block ×11, first 2 shown]
	v_sub_f32_e32 v35, v20, v22
	v_mul_f32_e32 v69, 0xbf6f5d39, v44
	v_mul_f32_e32 v72, 0xbf29c268, v31
	;; [unrolled: 1-line block ×6, first 2 shown]
	v_fmamk_f32 v152, v42, 0xbeb58ec6, v70
	v_fma_f32 v70, 0xbeb58ec6, v42, -v70
	v_fmamk_f32 v162, v42, 0xbf3f9e67, v110
	v_fma_f32 v110, 0xbf3f9e67, v42, -v110
	v_add_f32_e32 v19, v157, v141
	v_add_f32_e32 v29, v75, v55
	;; [unrolled: 1-line block ×13, first 2 shown]
	v_sub_f32_e32 v36, v21, v23
	v_mul_f32_e32 v71, 0xbf29c268, v32
	v_mul_f32_e32 v74, 0xbe750f2a, v35
	;; [unrolled: 1-line block ×10, first 2 shown]
	v_fma_f32 v151, 0xbeb58ec6, v41, -v69
	v_fmamk_f32 v154, v2, 0xbf3f9e67, v72
	v_fmac_f32_e32 v69, 0xbeb58ec6, v41
	v_fma_f32 v72, 0xbf3f9e67, v2, -v72
	v_fma_f32 v161, 0xbf3f9e67, v41, -v109
	v_fmamk_f32 v164, v2, 0x3df6dbef, v112
	v_fmac_f32_e32 v109, 0xbf3f9e67, v41
	v_fma_f32 v112, 0x3df6dbef, v2, -v112
	v_fma_f32 v171, 0x3f62ad3f, v41, -v119
	v_fmamk_f32 v172, v42, 0x3f62ad3f, v120
	v_fmac_f32_e32 v119, 0x3f62ad3f, v41
	v_add_f32_e32 v45, v45, v62
	v_add_f32_e32 v60, v116, v146
	;; [unrolled: 1-line block ×15, first 2 shown]
	v_mul_f32_e32 v73, 0xbe750f2a, v36
	v_mul_f32_e32 v123, 0xbf29c268, v36
	;; [unrolled: 1-line block ×5, first 2 shown]
	v_fma_f32 v153, 0xbf3f9e67, v3, -v71
	v_fmamk_f32 v156, v33, 0xbf788fa5, v74
	v_fmac_f32_e32 v71, 0xbf3f9e67, v3
	v_fma_f32 v74, 0xbf788fa5, v33, -v74
	v_fma_f32 v163, 0x3df6dbef, v3, -v111
	v_fmamk_f32 v166, v33, 0x3f62ad3f, v114
	v_fmac_f32_e32 v111, 0x3df6dbef, v3
	v_fma_f32 v114, 0x3f62ad3f, v33, -v114
	v_fma_f32 v173, 0x3f116cb1, v3, -v121
	v_fmamk_f32 v174, v2, 0x3f116cb1, v122
	v_fmac_f32_e32 v121, 0x3f116cb1, v3
	v_fma_f32 v51, 0x3df6dbef, v41, -v133
	v_fmac_f32_e32 v133, 0x3df6dbef, v41
	v_fma_f32 v186, 0xbf788fa5, v41, -v134
	v_fmac_f32_e32 v134, 0xbf788fa5, v41
	v_fma_f32 v187, 0x3f116cb1, v41, -v44
	;; [unrolled: 2-line block ×3, first 2 shown]
	v_fmamk_f32 v120, v42, 0x3df6dbef, v135
	v_add_f32_e32 v55, v177, v145
	v_add_f32_e32 v61, v125, v63
	;; [unrolled: 1-line block ×19, first 2 shown]
	v_mul_f32_e32 v113, 0x3eedf032, v36
	v_mul_f32_e32 v43, 0x3f52af12, v43
	;; [unrolled: 1-line block ×3, first 2 shown]
	v_fma_f32 v155, 0xbf788fa5, v34, -v73
	v_fmac_f32_e32 v73, 0xbf788fa5, v34
	v_fma_f32 v175, 0xbf3f9e67, v34, -v123
	v_fmamk_f32 v176, v33, 0xbf3f9e67, v124
	v_fmac_f32_e32 v123, 0xbf3f9e67, v34
	v_fmamk_f32 v188, v42, 0xbf788fa5, v136
	v_add_f32_e32 v40, v47, v55
	v_add_f32_e32 v46, v129, v61
	;; [unrolled: 1-line block ×16, first 2 shown]
	v_fmamk_f32 v13, v2, 0xbf788fa5, v138
	v_mul_f32_e32 v18, 0x3eedf032, v31
	v_fma_f32 v165, 0x3f62ad3f, v34, -v113
	v_fma_f32 v135, 0x3df6dbef, v42, -v135
	;; [unrolled: 1-line block ×3, first 2 shown]
	v_fmamk_f32 v189, v42, 0x3f116cb1, v43
	v_fma_f32 v42, 0x3f116cb1, v42, -v43
	v_fma_f32 v43, 0x3f116cb1, v2, -v122
	v_fma_f32 v122, 0xbf788fa5, v3, -v137
	v_add_f32_e32 v63, v178, v147
	v_add_f32_e32 v16, v181, v16
	;; [unrolled: 1-line block ×10, first 2 shown]
	v_mul_f32_e32 v15, 0x3eedf032, v32
	v_fmac_f32_e32 v137, 0xbf788fa5, v3
	v_add_f32_e32 v13, v13, v39
	v_mul_f32_e32 v25, 0xbf6f5d39, v32
	v_fmamk_f32 v21, v2, 0x3f62ad3f, v18
	v_mul_f32_e32 v39, 0x3f52af12, v36
	v_fmac_f32_e32 v113, 0x3f62ad3f, v34
	v_add_f32_e32 v65, v126, v65
	v_add_f32_e32 v66, v128, v66
	;; [unrolled: 1-line block ×12, first 2 shown]
	v_fma_f32 v19, 0x3f62ad3f, v3, -v15
	v_add_f32_e32 v24, v137, v40
	v_fmac_f32_e32 v15, 0x3f62ad3f, v3
	v_fma_f32 v32, 0xbeb58ec6, v3, -v25
	v_add_f32_e32 v37, v21, v46
	v_mul_f32_e32 v31, 0xbf6f5d39, v31
	v_fma_f32 v21, 0xbf3f9e67, v33, -v124
	v_fmac_f32_e32 v25, 0xbeb58ec6, v3
	v_mul_f32_e32 v40, 0x3f52af12, v35
	v_fma_f32 v3, 0x3f116cb1, v34, -v39
	v_add_f32_e32 v75, v179, v149
	v_add_f32_e32 v53, v130, v65
	;; [unrolled: 1-line block ×7, first 2 shown]
	v_fma_f32 v17, 0xbf788fa5, v2, -v138
	v_fma_f32 v18, 0x3f62ad3f, v2, -v18
	v_fmamk_f32 v38, v2, 0xbeb58ec6, v31
	v_add_f32_e32 v21, v21, v12
	v_add_f32_e32 v25, v25, v10
	v_fmamk_f32 v10, v33, 0x3f116cb1, v40
	v_fma_f32 v12, 0xbeb58ec6, v2, -v31
	v_add_f32_e32 v2, v3, v14
	v_mul_f32_e32 v14, 0xbf6f5d39, v36
	v_fmac_f32_e32 v39, 0x3f116cb1, v34
	v_add_f32_e32 v55, v183, v75
	v_add_f32_e32 v47, v134, v53
	;; [unrolled: 1-line block ×10, first 2 shown]
	v_mul_f32_e32 v16, 0xbf6f5d39, v35
	v_fma_f32 v13, 0x3f116cb1, v33, -v40
	v_fma_f32 v31, 0xbeb58ec6, v34, -v14
	v_add_f32_e32 v10, v39, v24
	v_mul_lo_u16 v24, v26, 13
	v_add_f32_e32 v49, v187, v55
	v_add_f32_e32 v15, v15, v47
	;; [unrolled: 1-line block ×4, first 2 shown]
	v_fmamk_f32 v41, v33, 0xbeb58ec6, v16
	v_add_f32_e32 v11, v13, v17
	v_add_f32_e32 v12, v31, v19
	v_fmac_f32_e32 v14, 0xbeb58ec6, v34
	v_fma_f32 v16, 0xbeb58ec6, v33, -v16
	v_mul_f32_e32 v19, 0x3f7e222b, v36
	v_mul_f32_e32 v17, 0x3f7e222b, v35
	v_and_b32_e32 v24, 0xffff, v24
	v_add_f32_e32 v32, v32, v49
	v_add_f32_e32 v14, v14, v15
	;; [unrolled: 1-line block ×3, first 2 shown]
	v_fma_f32 v16, 0x3df6dbef, v34, -v19
	v_fmamk_f32 v18, v33, 0x3df6dbef, v17
	v_fmac_f32_e32 v19, 0x3df6dbef, v34
	v_fma_f32 v31, 0x3df6dbef, v33, -v17
	v_lshl_add_u32 v64, v24, 3, v107
	v_add_f32_e32 v13, v41, v37
	v_add_f32_e32 v16, v16, v32
	;; [unrolled: 1-line block ×5, first 2 shown]
	ds_write2_b64 v64, v[8:9], v[0:1] offset1:1
	ds_write2_b64 v64, v[4:5], v[6:7] offset0:2 offset1:3
	ds_write2_b64 v64, v[2:3], v[12:13] offset0:4 offset1:5
	ds_write2_b64 v64, v[16:17], v[18:19] offset0:6 offset1:7
	ds_write2_b64 v64, v[14:15], v[10:11] offset0:8 offset1:9
	ds_write2_b64 v64, v[20:21], v[22:23] offset0:10 offset1:11
	ds_write_b64 v64, v[28:29] offset:96
	v_add_nc_u32_e32 v0, 0xc00, v106
	s_waitcnt lgkmcnt(0)
	s_barrier
	buffer_gl0_inv
	ds_read2_b64 v[32:35], v106 offset1:65
	ds_read2_b64 v[48:51], v106 offset0:169 offset1:234
	ds_read2_b64 v[40:43], v30 offset0:82 offset1:147
	;; [unrolled: 1-line block ×4, first 2 shown]
                                        ; implicit-def: $vgpr52
	s_and_saveexec_b32 s0, vcc_lo
	s_cbranch_execz .LBB0_3
; %bb.2:
	v_add_nc_u32_e32 v1, 0x400, v106
	ds_read2_b64 v[28:31], v0 offset0:84 offset1:253
	ds_read2_b64 v[20:23], v1 offset0:2 offset1:171
	ds_read_b64 v[52:53], v106 offset:6448
.LBB0_3:
	s_or_b32 exec_lo, exec_lo, s0
	v_and_b32_e32 v0, 0xff, v105
	v_add_nc_u16 v4, v105, 0x82
	v_mov_b32_e32 v3, 5
	v_mov_b32_e32 v54, 0x41
	v_mul_lo_u16 v0, 0x4f, v0
	v_lshrrev_b16 v55, 10, v0
	v_add_nc_u16 v0, v105, 0x41
	v_mul_lo_u16 v1, v55, 13
	v_and_b32_e32 v2, 0xff, v0
	v_mul_u32_u24_sdwa v55, v55, v54 dst_sel:DWORD dst_unused:UNUSED_PAD src0_sel:WORD_0 src1_sel:DWORD
	v_sub_nc_u16 v60, v105, v1
	v_mul_lo_u16 v1, 0x4f, v2
	v_and_b32_e32 v2, 0xff, v4
	v_lshlrev_b32_sdwa v5, v3, v60 dst_sel:DWORD dst_unused:UNUSED_PAD src0_sel:DWORD src1_sel:BYTE_0
	v_lshrrev_b16 v61, 10, v1
	v_mul_lo_u16 v1, 0x4f, v2
	v_add_nc_u32_sdwa v55, v55, v60 dst_sel:DWORD dst_unused:UNUSED_PAD src0_sel:DWORD src1_sel:BYTE_0
	global_load_dwordx4 v[24:27], v5, s[2:3]
	v_mul_lo_u16 v2, v61, 13
	v_lshrrev_b16 v109, 10, v1
	global_load_dwordx4 v[12:15], v5, s[2:3] offset:16
	v_mul_u32_u24_sdwa v61, v61, v54 dst_sel:DWORD dst_unused:UNUSED_PAD src0_sel:WORD_0 src1_sel:DWORD
	v_lshl_add_u32 v111, v55, 3, v107
	v_sub_nc_u16 v62, v0, v2
	v_mul_lo_u16 v0, v109, 13
	v_lshlrev_b32_sdwa v1, v3, v62 dst_sel:DWORD dst_unused:UNUSED_PAD src0_sel:DWORD src1_sel:BYTE_0
	v_sub_nc_u16 v108, v4, v0
	v_add_nc_u32_sdwa v60, v61, v62 dst_sel:DWORD dst_unused:UNUSED_PAD src0_sel:DWORD src1_sel:BYTE_0
	global_load_dwordx4 v[16:19], v1, s[2:3]
	v_lshlrev_b32_sdwa v0, v3, v108 dst_sel:DWORD dst_unused:UNUSED_PAD src0_sel:DWORD src1_sel:BYTE_0
	v_lshl_add_u32 v110, v60, 3, v107
	s_clause 0x2
	global_load_dwordx4 v[8:11], v1, s[2:3] offset:16
	global_load_dwordx4 v[4:7], v0, s[2:3]
	global_load_dwordx4 v[0:3], v0, s[2:3] offset:16
	s_waitcnt vmcnt(0) lgkmcnt(0)
	s_barrier
	buffer_gl0_inv
	v_mul_f32_e32 v55, v49, v25
	v_mul_f32_e32 v60, v48, v25
	;; [unrolled: 1-line block ×8, first 2 shown]
	v_fma_f32 v48, v48, v24, -v55
	v_fmac_f32_e32 v60, v49, v24
	v_fma_f32 v49, v40, v26, -v61
	v_fmac_f32_e32 v62, v41, v26
	;; [unrolled: 2-line block ×4, first 2 shown]
	v_mul_f32_e32 v44, v51, v17
	v_mul_f32_e32 v45, v50, v17
	v_mul_f32_e32 v61, v43, v19
	v_mul_f32_e32 v66, v42, v19
	v_mul_f32_e32 v63, v39, v9
	v_mul_f32_e32 v70, v38, v9
	v_mul_f32_e32 v69, v47, v11
	v_mul_f32_e32 v74, v46, v11
	v_mul_f32_e32 v71, v23, v5
	v_mul_f32_e32 v41, v22, v5
	v_mul_f32_e32 v72, v29, v7
	v_mul_f32_e32 v40, v28, v7
	v_mul_f32_e32 v73, v31, v1
	v_mul_f32_e32 v37, v30, v1
	v_mul_f32_e32 v75, v53, v3
	v_mul_f32_e32 v36, v52, v3
	v_fma_f32 v44, v50, v16, -v44
	v_fmac_f32_e32 v45, v51, v16
	v_fma_f32 v42, v42, v18, -v61
	v_fmac_f32_e32 v66, v43, v18
	;; [unrolled: 2-line block ×8, first 2 shown]
	v_add_f32_e32 v29, v32, v48
	v_add_f32_e32 v30, v49, v55
	v_sub_f32_e32 v51, v60, v68
	v_sub_f32_e32 v31, v48, v49
	;; [unrolled: 1-line block ×3, first 2 shown]
	v_add_f32_e32 v43, v48, v67
	v_sub_f32_e32 v46, v49, v48
	v_sub_f32_e32 v47, v55, v67
	v_add_f32_e32 v53, v33, v60
	v_sub_f32_e32 v63, v60, v62
	v_add_f32_e32 v75, v60, v68
	v_sub_f32_e32 v60, v62, v60
	v_sub_f32_e32 v103, v65, v68
	v_add_f32_e32 v61, v62, v65
	v_sub_f32_e32 v69, v62, v65
	v_sub_f32_e32 v71, v48, v67
	v_add_f32_e32 v104, v29, v49
	v_fma_f32 v48, -0.5, v30, v32
	v_add_f32_e32 v113, v31, v39
	v_fma_f32 v52, -0.5, v43, v32
	v_add_f32_e32 v114, v46, v47
	v_add_f32_e32 v31, v53, v62
	v_fma_f32 v53, -0.5, v75, v33
	v_add_f32_e32 v75, v60, v103
	v_add_f32_e32 v32, v34, v44
	;; [unrolled: 1-line block ×3, first 2 shown]
	v_sub_f32_e32 v46, v44, v42
	v_sub_f32_e32 v47, v112, v50
	v_add_f32_e32 v103, v44, v112
	v_sub_f32_e32 v117, v42, v44
	v_sub_f32_e32 v118, v50, v112
	v_add_f32_e32 v119, v35, v45
	v_sub_f32_e32 v121, v44, v112
	v_sub_f32_e32 v44, v45, v66
	;; [unrolled: 1-line block ×3, first 2 shown]
	v_add_f32_e32 v126, v28, v23
	v_add_f32_e32 v129, v38, v22
	;; [unrolled: 1-line block ×5, first 2 shown]
	v_sub_f32_e32 v72, v49, v55
	v_sub_f32_e32 v73, v68, v65
	v_fma_f32 v49, -0.5, v61, v33
	v_add_f32_e32 v124, v45, v74
	v_sub_f32_e32 v29, v41, v36
	v_sub_f32_e32 v30, v40, v37
	;; [unrolled: 1-line block ×4, first 2 shown]
	v_add_f32_e32 v55, v104, v55
	v_fmamk_f32 v62, v69, 0xbf737871, v52
	v_fmac_f32_e32 v52, 0x3f737871, v69
	v_add_f32_e32 v104, v31, v65
	v_add_f32_e32 v138, v32, v42
	v_fma_f32 v65, -0.5, v43, v34
	v_add_f32_e32 v139, v46, v47
	v_fma_f32 v34, -0.5, v103, v34
	v_add_f32_e32 v117, v117, v118
	v_add_f32_e32 v103, v119, v66
	;; [unrolled: 1-line block ×3, first 2 shown]
	v_fma_f32 v32, -0.5, v126, v20
	v_fma_f32 v31, -0.5, v129, v20
	v_fma_f32 v44, -0.5, v132, v21
	v_fma_f32 v46, -0.5, v135, v21
	v_sub_f32_e32 v115, v45, v74
	v_sub_f32_e32 v116, v66, v70
	;; [unrolled: 1-line block ×3, first 2 shown]
	v_fmamk_f32 v60, v51, 0x3f737871, v48
	v_fmac_f32_e32 v48, 0xbf737871, v51
	v_fma_f32 v66, -0.5, v120, v35
	v_add_f32_e32 v73, v63, v73
	v_sub_f32_e32 v122, v42, v50
	v_fmamk_f32 v61, v71, 0xbf737871, v49
	v_fmac_f32_e32 v49, 0x3f737871, v71
	v_fmamk_f32 v63, v72, 0x3f737871, v53
	v_fmac_f32_e32 v53, 0xbf737871, v72
	v_fmac_f32_e32 v35, -0.5, v124
	v_sub_f32_e32 v125, v70, v74
	v_sub_f32_e32 v127, v38, v28
	;; [unrolled: 1-line block ×9, first 2 shown]
	v_add_f32_e32 v67, v55, v67
	v_fmac_f32_e32 v62, 0x3f167918, v51
	v_fmac_f32_e32 v52, 0xbf167918, v51
	v_add_f32_e32 v68, v104, v68
	v_add_f32_e32 v55, v138, v50
	;; [unrolled: 1-line block ×3, first 2 shown]
	v_fmamk_f32 v103, v29, 0xbf737871, v32
	v_fmamk_f32 v50, v30, 0x3f737871, v31
	;; [unrolled: 1-line block ×4, first 2 shown]
	v_fmac_f32_e32 v60, 0x3f167918, v69
	v_fmac_f32_e32 v48, 0xbf167918, v69
	v_fmamk_f32 v69, v115, 0x3f737871, v65
	v_fmamk_f32 v70, v121, 0xbf737871, v66
	v_fmac_f32_e32 v61, 0xbf167918, v72
	v_fmac_f32_e32 v49, 0x3f167918, v72
	;; [unrolled: 1-line block ×4, first 2 shown]
	v_fmamk_f32 v71, v116, 0xbf737871, v34
	v_fmac_f32_e32 v34, 0x3f737871, v116
	v_fmamk_f32 v72, v122, 0x3f737871, v35
	v_fmac_f32_e32 v35, 0xbf737871, v122
	v_add_f32_e32 v119, v45, v125
	v_add_f32_e32 v47, v127, v128
	;; [unrolled: 1-line block ×5, first 2 shown]
	v_fmac_f32_e32 v65, 0xbf737871, v115
	v_fmac_f32_e32 v66, 0x3f737871, v121
	v_fmac_f32_e32 v103, 0xbf167918, v30
	v_fmac_f32_e32 v50, 0xbf167918, v29
	v_fmac_f32_e32 v104, 0x3f167918, v39
	v_fmac_f32_e32 v51, 0x3f167918, v33
	v_fmac_f32_e32 v69, 0x3f167918, v116
	v_fmac_f32_e32 v70, 0xbf167918, v122
	v_fmac_f32_e32 v71, 0x3f167918, v115
	v_fmac_f32_e32 v34, 0xbf167918, v115
	v_fmac_f32_e32 v72, 0xbf167918, v121
	v_fmac_f32_e32 v35, 0x3f167918, v121
	v_fmac_f32_e32 v60, 0x3e9e377a, v113
	v_fmac_f32_e32 v61, 0x3e9e377a, v73
	v_fmac_f32_e32 v65, 0xbf167918, v116
	v_fmac_f32_e32 v66, 0x3f167918, v122
	v_fmac_f32_e32 v103, 0x3e9e377a, v47
	v_fmac_f32_e32 v50, 0x3e9e377a, v42
	v_fmac_f32_e32 v104, 0x3e9e377a, v43
	v_fmac_f32_e32 v51, 0x3e9e377a, v45
	v_fmac_f32_e32 v62, 0x3e9e377a, v114
	v_fmac_f32_e32 v52, 0x3e9e377a, v114
	v_fmac_f32_e32 v63, 0x3e9e377a, v75
	v_fmac_f32_e32 v53, 0x3e9e377a, v75
	v_fmac_f32_e32 v48, 0x3e9e377a, v113
	v_fmac_f32_e32 v49, 0x3e9e377a, v73
	v_add_f32_e32 v73, v55, v112
	v_add_f32_e32 v74, v120, v74
	v_fmac_f32_e32 v69, 0x3e9e377a, v139
	v_fmac_f32_e32 v70, 0x3e9e377a, v118
	;; [unrolled: 1-line block ×8, first 2 shown]
	ds_write2_b64 v111, v[67:68], v[60:61] offset1:13
	ds_write2_b64 v111, v[62:63], v[52:53] offset0:26 offset1:39
	ds_write_b64 v111, v[48:49] offset:416
	ds_write2_b64 v110, v[73:74], v[69:70] offset1:13
	ds_write2_b64 v110, v[71:72], v[34:35] offset0:26 offset1:39
	ds_write_b64 v110, v[65:66] offset:416
	s_and_saveexec_b32 s0, vcc_lo
	s_cbranch_execz .LBB0_5
; %bb.4:
	v_mul_f32_e32 v48, 0x3f737871, v39
	v_mul_f32_e32 v49, 0x3f737871, v33
	v_mul_f32_e32 v33, 0x3f167918, v33
	v_mul_f32_e32 v34, 0x3f737871, v29
	v_add_f32_e32 v41, v21, v41
	v_add_f32_e32 v46, v48, v46
	v_mul_f32_e32 v48, 0x3f167918, v29
	v_mul_f32_e32 v29, 0x3e9e377a, v43
	;; [unrolled: 1-line block ×3, first 2 shown]
	v_add_f32_e32 v20, v20, v38
	v_sub_f32_e32 v33, v46, v33
	v_mul_f32_e32 v35, 0x3f167918, v30
	v_mul_f32_e32 v30, 0x3f737871, v30
	;; [unrolled: 1-line block ×3, first 2 shown]
	v_sub_f32_e32 v44, v44, v49
	v_add_f32_e32 v21, v43, v33
	v_add_f32_e32 v33, v41, v40
	;; [unrolled: 1-line block ×4, first 2 shown]
	v_mul_u32_u24_sdwa v28, v109, v54 dst_sel:DWORD dst_unused:UNUSED_PAD src0_sel:WORD_0 src1_sel:DWORD
	v_sub_f32_e32 v30, v31, v30
	v_mul_f32_e32 v47, 0x3e9e377a, v47
	v_sub_f32_e32 v39, v44, v39
	v_add_f32_e32 v31, v33, v37
	v_add_f32_e32 v32, v35, v32
	;; [unrolled: 1-line block ×3, first 2 shown]
	v_add_nc_u32_sdwa v33, v28, v108 dst_sel:DWORD dst_unused:UNUSED_PAD src0_sel:DWORD src1_sel:BYTE_0
	v_mul_f32_e32 v42, 0x3e9e377a, v42
	v_add_f32_e32 v30, v48, v30
	v_add_f32_e32 v29, v29, v39
	;; [unrolled: 1-line block ×5, first 2 shown]
	v_lshl_add_u32 v31, v33, 3, v107
	v_add_f32_e32 v20, v42, v30
	ds_write2_b64 v31, v[22:23], v[28:29] offset1:13
	ds_write2_b64 v31, v[20:21], v[50:51] offset0:26 offset1:39
	ds_write_b64 v31, v[103:104] offset:416
.LBB0_5:
	s_or_b32 exec_lo, exec_lo, s0
	v_mad_u64_u32 v[28:29], null, 0x60, v105, s[2:3]
	s_waitcnt lgkmcnt(0)
	s_barrier
	buffer_gl0_inv
	v_add_nc_u32_e32 v65, 0x800, v106
	v_add_nc_u32_e32 v112, 0x1000, v106
	s_clause 0x5
	global_load_dwordx4 v[44:47], v[28:29], off offset:416
	global_load_dwordx4 v[40:43], v[28:29], off offset:432
	;; [unrolled: 1-line block ×6, first 2 shown]
	ds_read2_b64 v[52:55], v106 offset1:65
	ds_read2_b64 v[67:70], v106 offset0:130 offset1:195
	ds_read2_b64 v[115:118], v65 offset0:4 offset1:69
	;; [unrolled: 1-line block ×5, first 2 shown]
	ds_read_b64 v[133:134], v106 offset:6240
	s_waitcnt vmcnt(5) lgkmcnt(6)
	v_mul_f32_e32 v135, v54, v45
	v_mul_f32_e32 v71, v55, v45
	s_waitcnt lgkmcnt(5)
	v_mul_f32_e32 v74, v68, v47
	v_mul_f32_e32 v119, v67, v47
	s_waitcnt vmcnt(3) lgkmcnt(3)
	v_mul_f32_e32 v48, v121, v35
	s_waitcnt vmcnt(0) lgkmcnt(1)
	v_mul_f32_e32 v62, v131, v29
	s_waitcnt lgkmcnt(0)
	v_mul_f32_e32 v144, v134, v31
	v_mul_f32_e32 v63, v133, v31
	v_fmac_f32_e32 v135, v55, v44
	v_mul_f32_e32 v113, v69, v41
	v_mul_f32_e32 v72, v117, v33
	;; [unrolled: 1-line block ×8, first 2 shown]
	v_fma_f32 v145, v54, v44, -v71
	v_fma_f32 v120, v67, v46, -v74
	v_fmac_f32_e32 v119, v68, v46
	v_fmac_f32_e32 v48, v122, v34
	v_fma_f32 v67, v133, v30, -v144
	v_fmac_f32_e32 v63, v134, v30
	v_fmac_f32_e32 v62, v132, v28
	v_add_f32_e32 v122, v53, v135
	v_mul_f32_e32 v75, v70, v41
	v_mul_f32_e32 v136, v116, v43
	;; [unrolled: 1-line block ×8, first 2 shown]
	v_fmac_f32_e32 v113, v70, v40
	v_fmac_f32_e32 v72, v118, v32
	v_fma_f32 v54, v121, v34, -v138
	v_fma_f32 v55, v123, v20, -v139
	v_fmac_f32_e32 v49, v124, v20
	v_fmac_f32_e32 v66, v126, v22
	;; [unrolled: 1-line block ×3, first 2 shown]
	v_fma_f32 v68, v131, v28, -v143
	v_add_f32_e32 v121, v52, v145
	v_sub_f32_e32 v123, v145, v67
	v_sub_f32_e32 v124, v135, v63
	v_add_f32_e32 v118, v119, v62
	v_sub_f32_e32 v126, v119, v62
	v_add_f32_e32 v119, v122, v119
	v_fma_f32 v114, v69, v40, -v75
	v_fma_f32 v75, v115, v42, -v136
	v_fmac_f32_e32 v73, v116, v42
	v_fma_f32 v74, v117, v32, -v137
	v_fma_f32 v71, v125, v22, -v140
	v_fma_f32 v70, v127, v36, -v141
	v_fmac_f32_e32 v60, v128, v36
	v_fma_f32 v69, v129, v38, -v142
	v_add_f32_e32 v115, v145, v67
	v_add_f32_e32 v116, v135, v63
	;; [unrolled: 1-line block ×3, first 2 shown]
	v_sub_f32_e32 v125, v120, v68
	v_add_f32_e32 v128, v113, v61
	v_sub_f32_e32 v130, v113, v61
	v_add_f32_e32 v120, v121, v120
	v_mul_f32_e32 v121, 0xbeedf032, v124
	v_mul_f32_e32 v122, 0xbeedf032, v123
	v_mul_f32_e32 v139, 0xbf52af12, v124
	v_mul_f32_e32 v140, 0xbf52af12, v123
	v_mul_f32_e32 v141, 0xbf7e222b, v124
	v_mul_f32_e32 v142, 0xbf7e222b, v123
	v_mul_f32_e32 v143, 0xbf6f5d39, v124
	v_mul_f32_e32 v144, 0xbf6f5d39, v123
	v_mul_f32_e32 v145, 0xbf29c268, v124
	v_mul_f32_e32 v146, 0xbf29c268, v123
	v_mul_f32_e32 v124, 0xbe750f2a, v124
	v_mul_f32_e32 v123, 0xbe750f2a, v123
	v_add_f32_e32 v113, v119, v113
	v_add_f32_e32 v127, v114, v69
	v_sub_f32_e32 v129, v114, v69
	v_sub_f32_e32 v132, v73, v60
	v_add_f32_e32 v134, v73, v60
	v_mul_f32_e32 v147, 0xbf52af12, v126
	v_mul_f32_e32 v148, 0xbf52af12, v125
	;; [unrolled: 1-line block ×12, first 2 shown]
	v_add_f32_e32 v114, v120, v114
	v_fma_f32 v119, 0x3f62ad3f, v115, -v121
	v_fmamk_f32 v120, v116, 0x3f62ad3f, v122
	v_fmac_f32_e32 v121, 0x3f62ad3f, v115
	v_fma_f32 v122, 0x3f62ad3f, v116, -v122
	v_fma_f32 v187, 0x3f116cb1, v115, -v139
	v_fmamk_f32 v188, v116, 0x3f116cb1, v140
	v_fmac_f32_e32 v139, 0x3f116cb1, v115
	v_fma_f32 v140, 0x3f116cb1, v116, -v140
	;; [unrolled: 4-line block ×6, first 2 shown]
	v_add_f32_e32 v73, v113, v73
	v_sub_f32_e32 v133, v75, v70
	v_sub_f32_e32 v136, v72, v66
	v_add_f32_e32 v138, v72, v66
	v_mul_f32_e32 v157, 0xbf7e222b, v130
	v_mul_f32_e32 v158, 0xbf7e222b, v129
	;; [unrolled: 1-line block ×12, first 2 shown]
	v_fma_f32 v116, 0x3f116cb1, v117, -v147
	v_fmac_f32_e32 v147, 0x3f116cb1, v117
	v_fma_f32 v197, 0xbeb58ec6, v117, -v149
	v_fmac_f32_e32 v149, 0xbeb58ec6, v117
	;; [unrolled: 2-line block ×6, first 2 shown]
	v_fma_f32 v117, 0x3f62ad3f, v118, -v125
	v_add_f32_e32 v120, v53, v120
	v_add_f32_e32 v122, v53, v122
	;; [unrolled: 1-line block ×14, first 2 shown]
	v_mul_f32_e32 v172, 0xbf6f5d39, v133
	v_mul_f32_e32 v173, 0x3f29c268, v133
	v_mul_f32_e32 v174, 0x3eedf032, v133
	v_mul_f32_e32 v175, 0xbf7e222b, v133
	v_mul_f32_e32 v176, 0x3e750f2a, v133
	v_mul_f32_e32 v133, 0x3f52af12, v133
	v_fmamk_f32 v123, v118, 0x3f116cb1, v148
	v_fma_f32 v148, 0x3f116cb1, v118, -v148
	v_fmamk_f32 v198, v118, 0xbeb58ec6, v150
	v_fma_f32 v150, 0xbeb58ec6, v118, -v150
	;; [unrolled: 2-line block ×6, first 2 shown]
	v_fmamk_f32 v125, v128, 0x3df6dbef, v158
	v_fmac_f32_e32 v157, 0x3df6dbef, v127
	v_fma_f32 v158, 0x3df6dbef, v128, -v158
	v_fma_f32 v207, 0xbf788fa5, v127, -v159
	v_fmamk_f32 v208, v128, 0xbf788fa5, v160
	v_fmac_f32_e32 v159, 0xbf788fa5, v127
	v_fma_f32 v160, 0xbf788fa5, v128, -v160
	v_fma_f32 v209, 0xbeb58ec6, v127, -v161
	;; [unrolled: 4-line block ×5, first 2 shown]
	v_fmac_f32_e32 v130, 0xbf3f9e67, v127
	v_fmamk_f32 v127, v128, 0xbf3f9e67, v129
	v_fma_f32 v128, 0xbf3f9e67, v128, -v129
	v_add_f32_e32 v75, v114, v75
	v_add_f32_e32 v53, v117, v53
	;; [unrolled: 1-line block ×4, first 2 shown]
	v_sub_f32_e32 v137, v74, v71
	v_fmamk_f32 v225, v134, 0x3f116cb1, v133
	v_fma_f32 v133, 0x3f116cb1, v134, -v133
	v_add_f32_e32 v119, v52, v119
	v_add_f32_e32 v121, v52, v121
	v_add_f32_e32 v187, v52, v187
	v_add_f32_e32 v139, v52, v139
	v_add_f32_e32 v189, v52, v189
	v_add_f32_e32 v141, v52, v141
	v_add_f32_e32 v191, v52, v191
	v_add_f32_e32 v143, v52, v143
	v_add_f32_e32 v193, v52, v193
	v_add_f32_e32 v145, v52, v145
	v_add_f32_e32 v195, v52, v195
	v_add_f32_e32 v52, v52, v124
	v_add_f32_e32 v74, v75, v74
	v_add_f32_e32 v53, v128, v53
	v_add_f32_e32 v72, v72, v49
	v_mul_f32_e32 v167, 0xbf6f5d39, v132
	v_mul_f32_e32 v168, 0x3f29c268, v132
	;; [unrolled: 1-line block ×6, first 2 shown]
	v_add_f32_e32 v52, v126, v52
	v_add_f32_e32 v74, v74, v54
	;; [unrolled: 1-line block ×4, first 2 shown]
	v_fma_f32 v220, 0x3f116cb1, v131, -v132
	v_fmac_f32_e32 v132, 0x3f116cb1, v131
	v_add_f32_e32 v113, v116, v119
	v_add_f32_e32 v114, v123, v120
	v_add_f32_e32 v116, v148, v122
	v_add_f32_e32 v120, v198, v188
	v_add_f32_e32 v122, v150, v140
	v_add_f32_e32 v124, v200, v190
	v_add_f32_e32 v140, v152, v142
	v_add_f32_e32 v142, v154, v144
	v_add_f32_e32 v144, v204, v194
	v_add_f32_e32 v52, v130, v52
	v_add_f32_e32 v74, v74, v55
	v_add_f32_e32 v53, v53, v60
	v_mul_f32_e32 v178, 0xbf29c268, v137
	v_mul_f32_e32 v180, 0x3f7e222b, v137
	;; [unrolled: 1-line block ×4, first 2 shown]
	v_fma_f32 v129, 0xbeb58ec6, v131, -v167
	v_fmac_f32_e32 v167, 0xbeb58ec6, v131
	v_fma_f32 v216, 0xbf3f9e67, v131, -v168
	v_fmac_f32_e32 v168, 0xbf3f9e67, v131
	;; [unrolled: 2-line block ×5, first 2 shown]
	v_fmamk_f32 v131, v134, 0xbeb58ec6, v172
	v_fmamk_f32 v221, v134, 0xbf3f9e67, v173
	;; [unrolled: 1-line block ×3, first 2 shown]
	v_fma_f32 v174, 0x3f62ad3f, v134, -v174
	v_fmamk_f32 v224, v134, 0xbf788fa5, v176
	v_add_f32_e32 v115, v147, v121
	v_add_f32_e32 v119, v197, v187
	;; [unrolled: 1-line block ×20, first 2 shown]
	v_mul_f32_e32 v177, 0xbf29c268, v136
	v_mul_f32_e32 v179, 0x3f7e222b, v136
	;; [unrolled: 1-line block ×5, first 2 shown]
	v_fma_f32 v172, 0xbeb58ec6, v134, -v172
	v_fma_f32 v173, 0xbf3f9e67, v134, -v173
	v_fmamk_f32 v223, v134, 0x3df6dbef, v175
	v_fma_f32 v175, 0x3df6dbef, v134, -v175
	v_fmamk_f32 v226, v138, 0xbf3f9e67, v178
	v_fmamk_f32 v228, v138, 0x3df6dbef, v180
	;; [unrolled: 1-line block ×3, first 2 shown]
	v_fma_f32 v182, 0x3f116cb1, v138, -v182
	v_add_f32_e32 v146, v156, v146
	v_add_f32_e32 v115, v157, v115
	;; [unrolled: 1-line block ×20, first 2 shown]
	v_fmamk_f32 v60, v138, 0x3f62ad3f, v186
	v_mul_f32_e32 v61, 0xbf6f5d39, v136
	v_mul_f32_e32 v183, 0x3e750f2a, v136
	v_fma_f32 v176, 0xbf788fa5, v134, -v176
	v_fma_f32 v134, 0xbf3f9e67, v135, -v177
	v_fmac_f32_e32 v177, 0xbf3f9e67, v135
	v_fma_f32 v178, 0xbf3f9e67, v138, -v178
	v_fma_f32 v227, 0x3df6dbef, v135, -v179
	;; [unrolled: 1-line block ×4, first 2 shown]
	v_fmac_f32_e32 v181, 0x3f116cb1, v135
	v_fmamk_f32 v232, v138, 0xbf788fa5, v184
	v_fma_f32 v184, 0xbf788fa5, v138, -v184
	v_fma_f32 v233, 0x3f62ad3f, v135, -v185
	v_add_f32_e32 v148, v206, v196
	v_add_f32_e32 v142, v166, v146
	v_add_f32_e32 v115, v167, v115
	v_add_f32_e32 v116, v172, v116
	v_add_f32_e32 v117, v216, v117
	v_add_f32_e32 v120, v173, v120
	v_add_f32_e32 v121, v217, v121
	v_add_f32_e32 v123, v169, v123
	v_add_f32_e32 v126, v175, v126
	v_add_f32_e32 v128, v219, v139
	v_add_f32_e32 v130, v171, v141
	v_add_f32_e32 v139, v220, v143
	v_add_f32_e32 v71, v226, v114
	v_add_f32_e32 v114, v228, v118
	v_add_f32_e32 v52, v52, v69
	v_add_f32_e32 v69, v230, v122
	v_add_f32_e32 v118, v182, v124
	v_add_f32_e32 v53, v53, v63
	v_fmac_f32_e32 v185, 0x3f62ad3f, v135
	v_add_f32_e32 v122, v60, v129
	v_fma_f32 v62, 0xbeb58ec6, v135, -v61
	v_mul_f32_e32 v63, 0xbf6f5d39, v137
	v_sub_f32_e32 v124, v48, v49
	v_sub_f32_e32 v129, v54, v55
	v_fmac_f32_e32 v179, 0x3df6dbef, v135
	v_fma_f32 v231, 0xbf788fa5, v135, -v183
	v_add_f32_e32 v127, v127, v148
	v_add_f32_e32 v119, v168, v119
	;; [unrolled: 1-line block ×13, first 2 shown]
	v_fma_f32 v60, 0x3f62ad3f, v138, -v186
	v_add_f32_e32 v123, v185, v130
	v_add_f32_e32 v126, v62, v139
	;; [unrolled: 1-line block ×3, first 2 shown]
	v_mul_f32_e32 v62, 0xbe750f2a, v124
	v_fmac_f32_e32 v61, 0xbeb58ec6, v135
	v_fma_f32 v54, 0xbeb58ec6, v138, -v63
	v_add_f32_e32 v130, v48, v49
	v_mul_f32_e32 v49, 0xbe750f2a, v129
	v_add_f32_e32 v73, v202, v192
	v_add_f32_e32 v127, v225, v127
	;; [unrolled: 1-line block ×6, first 2 shown]
	v_fmamk_f32 v60, v138, 0xbeb58ec6, v63
	v_fma_f32 v48, 0xbf788fa5, v128, -v62
	v_add_f32_e32 v131, v61, v132
	v_add_f32_e32 v132, v54, v133
	v_fmamk_f32 v54, v130, 0xbf788fa5, v49
	v_mul_f32_e32 v63, 0x3eedf032, v124
	v_fmac_f32_e32 v62, 0xbf788fa5, v128
	v_mul_f32_e32 v61, 0x3eedf032, v129
	v_mul_f32_e32 v68, 0xbf29c268, v124
	v_add_f32_e32 v73, v212, v73
	v_add_f32_e32 v75, v163, v75
	;; [unrolled: 1-line block ×5, first 2 shown]
	v_fma_f32 v55, 0xbf788fa5, v130, -v49
	v_add_f32_e32 v49, v54, v71
	v_fma_f32 v60, 0x3f62ad3f, v128, -v63
	v_add_f32_e32 v54, v62, v72
	v_fmamk_f32 v62, v130, 0x3f62ad3f, v61
	v_fmac_f32_e32 v63, 0x3f62ad3f, v128
	v_fma_f32 v66, 0x3f62ad3f, v130, -v61
	v_fma_f32 v67, 0xbf3f9e67, v128, -v68
	v_mul_f32_e32 v71, 0xbf29c268, v129
	v_mul_f32_e32 v72, 0x3f52af12, v124
	v_fmac_f32_e32 v183, 0xbf788fa5, v135
	v_add_f32_e32 v73, v223, v73
	v_add_f32_e32 v75, v170, v75
	;; [unrolled: 1-line block ×7, first 2 shown]
	v_fmamk_f32 v67, v130, 0xbf3f9e67, v71
	v_fma_f32 v70, 0xbf3f9e67, v130, -v71
	v_fma_f32 v71, 0x3f116cb1, v128, -v72
	v_mul_f32_e32 v74, 0x3f52af12, v129
	v_fmac_f32_e32 v68, 0xbf3f9e67, v128
	v_add_f32_e32 v73, v232, v73
	v_add_f32_e32 v75, v183, v75
	;; [unrolled: 1-line block ×6, first 2 shown]
	v_fmamk_f32 v71, v130, 0x3f116cb1, v74
	v_fmac_f32_e32 v72, 0x3f116cb1, v128
	v_fma_f32 v74, 0x3f116cb1, v130, -v74
	v_mul_f32_e32 v113, 0xbf6f5d39, v124
	v_mul_f32_e32 v114, 0xbf6f5d39, v129
	v_add_f32_e32 v68, v68, v117
	v_mul_f32_e32 v117, 0x3f7e222b, v124
	v_mul_f32_e32 v115, 0x3f7e222b, v129
	v_add_f32_e32 v71, v71, v73
	v_add_f32_e32 v72, v72, v75
	;; [unrolled: 1-line block ×3, first 2 shown]
	v_fma_f32 v74, 0xbeb58ec6, v128, -v113
	v_fmamk_f32 v75, v130, 0xbeb58ec6, v114
	v_fma_f32 v116, 0x3df6dbef, v128, -v117
	v_fmamk_f32 v118, v130, 0x3df6dbef, v115
	v_fmac_f32_e32 v117, 0x3df6dbef, v128
	v_fma_f32 v119, 0x3df6dbef, v130, -v115
	v_fmac_f32_e32 v113, 0xbeb58ec6, v128
	v_fma_f32 v114, 0xbeb58ec6, v130, -v114
	v_add_f32_e32 v74, v74, v121
	v_add_f32_e32 v75, v75, v122
	;; [unrolled: 1-line block ×8, first 2 shown]
	ds_write2_b64 v106, v[52:53], v[48:49] offset1:65
	ds_write2_b64 v106, v[60:61], v[66:67] offset0:130 offset1:195
	ds_write2_b64 v65, v[70:71], v[74:75] offset0:4 offset1:69
	;; [unrolled: 1-line block ×5, first 2 shown]
	ds_write_b64 v106, v[54:55] offset:6240
	v_add_co_u32 v48, s0, 0x1a68, v58
	v_add_co_ci_u32_e64 v49, s0, 0, v59, s0
	v_add_co_u32 v52, s0, 0x2000, v58
	v_add_co_ci_u32_e64 v53, s0, 0, v59, s0
	;; [unrolled: 2-line block ×3, first 2 shown]
	s_waitcnt lgkmcnt(0)
	s_barrier
	buffer_gl0_inv
	s_clause 0x8
	global_load_dwordx2 v[74:75], v[56:57], off offset:616
	global_load_dwordx2 v[117:118], v[48:49], off offset:520
	;; [unrolled: 1-line block ×9, first 2 shown]
	v_add_co_u32 v52, s0, 0x3000, v58
	v_add_co_ci_u32_e64 v53, s0, 0, v59, s0
	s_clause 0x3
	global_load_dwordx2 v[131:132], v[54:55], off offset:1200
	global_load_dwordx2 v[133:134], v[54:55], off offset:1720
	;; [unrolled: 1-line block ×4, first 2 shown]
	ds_read2_b64 v[52:55], v106 offset1:65
	ds_read2_b64 v[56:59], v106 offset0:130 offset1:195
	ds_read2_b64 v[60:63], v65 offset0:4 offset1:69
	ds_read2_b64 v[66:69], v65 offset0:134 offset1:199
	ds_read2_b64 v[70:73], v112 offset0:8 offset1:73
	ds_read2_b64 v[113:116], v112 offset0:138 offset1:203
	ds_read_b64 v[139:140], v106 offset:6240
	s_waitcnt vmcnt(12) lgkmcnt(6)
	v_mul_f32_e32 v141, v53, v75
	v_mul_f32_e32 v142, v52, v75
	s_waitcnt vmcnt(11)
	v_mul_f32_e32 v143, v55, v118
	v_mul_f32_e32 v75, v54, v118
	s_waitcnt vmcnt(10) lgkmcnt(5)
	v_mul_f32_e32 v144, v57, v120
	v_mul_f32_e32 v118, v56, v120
	s_waitcnt vmcnt(9)
	v_mul_f32_e32 v145, v59, v49
	v_mul_f32_e32 v120, v58, v49
	;; [unrolled: 6-line block ×6, first 2 shown]
	s_waitcnt vmcnt(0) lgkmcnt(0)
	v_mul_f32_e32 v154, v140, v138
	v_mul_f32_e32 v136, v139, v138
	v_fma_f32 v141, v52, v74, -v141
	v_fmac_f32_e32 v142, v53, v74
	v_fma_f32 v74, v54, v117, -v143
	v_fmac_f32_e32 v75, v55, v117
	;; [unrolled: 2-line block ×13, first 2 shown]
	ds_write2_b64 v106, v[141:142], v[74:75] offset1:65
	ds_write2_b64 v106, v[117:118], v[119:120] offset0:130 offset1:195
	ds_write2_b64 v65, v[48:49], v[121:122] offset0:4 offset1:69
	;; [unrolled: 1-line block ×5, first 2 shown]
	ds_write_b64 v106, v[135:136] offset:6240
	s_waitcnt lgkmcnt(0)
	s_barrier
	buffer_gl0_inv
	ds_read2_b64 v[66:69], v106 offset1:65
	ds_read_b64 v[48:49], v106 offset:6240
	ds_read2_b64 v[70:73], v106 offset0:130 offset1:195
	ds_read2_b64 v[113:116], v112 offset0:138 offset1:203
	;; [unrolled: 1-line block ×5, first 2 shown]
	s_waitcnt lgkmcnt(0)
	s_barrier
	buffer_gl0_inv
	v_add_f32_e32 v74, v66, v68
	v_add_f32_e32 v75, v67, v69
	;; [unrolled: 1-line block ×3, first 2 shown]
	v_sub_f32_e32 v69, v69, v49
	v_add_f32_e32 v119, v115, v70
	v_add_f32_e32 v120, v116, v71
	v_sub_f32_e32 v121, v70, v115
	v_sub_f32_e32 v122, v71, v116
	v_add_f32_e32 v70, v74, v70
	v_add_f32_e32 v71, v75, v71
	;; [unrolled: 1-line block ×3, first 2 shown]
	v_sub_f32_e32 v68, v68, v48
	v_mul_f32_e32 v74, 0xbeedf032, v69
	v_mul_f32_e32 v75, 0x3f62ad3f, v118
	;; [unrolled: 1-line block ×12, first 2 shown]
	v_add_f32_e32 v70, v70, v72
	v_add_f32_e32 v71, v71, v73
	;; [unrolled: 1-line block ×4, first 2 shown]
	v_sub_f32_e32 v125, v72, v113
	v_sub_f32_e32 v126, v73, v114
	v_mul_f32_e32 v137, 0xbf52af12, v122
	v_mul_f32_e32 v138, 0x3f116cb1, v120
	;; [unrolled: 1-line block ×12, first 2 shown]
	v_fmamk_f32 v72, v117, 0x3f62ad3f, v74
	v_fmamk_f32 v73, v68, 0x3eedf032, v75
	v_fma_f32 v74, 0x3f62ad3f, v117, -v74
	v_fmac_f32_e32 v75, 0xbeedf032, v68
	v_fmamk_f32 v157, v117, 0x3f116cb1, v129
	v_fmamk_f32 v158, v68, 0x3f52af12, v130
	v_fma_f32 v129, 0x3f116cb1, v117, -v129
	v_fmac_f32_e32 v130, 0xbf52af12, v68
	;; [unrolled: 4-line block ×6, first 2 shown]
	v_add_f32_e32 v70, v70, v56
	v_add_f32_e32 v71, v71, v57
	v_fmamk_f32 v68, v119, 0x3f116cb1, v137
	v_fma_f32 v137, 0x3f116cb1, v119, -v137
	v_fmamk_f32 v167, v119, 0xbeb58ec6, v139
	v_fma_f32 v139, 0xbeb58ec6, v119, -v139
	;; [unrolled: 2-line block ×5, first 2 shown]
	v_fmamk_f32 v175, v119, 0x3f62ad3f, v122
	v_fmamk_f32 v176, v121, 0xbeedf032, v120
	v_fma_f32 v119, 0x3f62ad3f, v119, -v122
	v_fmac_f32_e32 v120, 0x3eedf032, v121
	v_add_f32_e32 v72, v66, v72
	v_add_f32_e32 v73, v67, v73
	;; [unrolled: 1-line block ×26, first 2 shown]
	v_sub_f32_e32 v128, v57, v63
	v_add_f32_e32 v119, v119, v66
	v_add_f32_e32 v120, v120, v67
	v_add_f32_e32 v66, v69, v52
	v_add_f32_e32 v67, v70, v53
	v_mul_f32_e32 v147, 0xbf7e222b, v126
	v_add_f32_e32 v127, v62, v56
	v_mul_f32_e32 v148, 0x3df6dbef, v124
	v_add_f32_e32 v66, v66, v54
	v_add_f32_e32 v67, v67, v55
	v_mul_f32_e32 v149, 0xbe750f2a, v126
	v_mul_f32_e32 v150, 0xbf788fa5, v124
	v_mul_f32_e32 v151, 0x3f6f5d39, v126
	v_add_f32_e32 v66, v66, v60
	v_add_f32_e32 v67, v67, v61
	v_mul_f32_e32 v152, 0xbeb58ec6, v124
	v_mul_f32_e32 v153, 0x3eedf032, v126
	;; [unrolled: 5-line block ×3, first 2 shown]
	v_mul_f32_e32 v126, 0xbf29c268, v126
	v_add_f32_e32 v66, v66, v113
	v_add_f32_e32 v67, v67, v114
	v_mul_f32_e32 v124, 0xbf3f9e67, v124
	v_fmamk_f32 v117, v121, 0x3f52af12, v138
	v_fmac_f32_e32 v138, 0xbf52af12, v121
	v_add_f32_e32 v66, v66, v115
	v_add_f32_e32 v67, v67, v116
	v_fmamk_f32 v168, v121, 0x3f6f5d39, v140
	v_fmac_f32_e32 v140, 0xbf6f5d39, v121
	v_fmamk_f32 v170, v121, 0x3e750f2a, v142
	v_fmac_f32_e32 v142, 0xbe750f2a, v121
	;; [unrolled: 2-line block ×4, first 2 shown]
	v_fmamk_f32 v121, v123, 0x3df6dbef, v147
	v_add_f32_e32 v68, v68, v72
	v_add_f32_e32 v66, v66, v48
	;; [unrolled: 1-line block ×3, first 2 shown]
	v_mul_f32_e32 v48, 0xbf6f5d39, v128
	v_add_f32_e32 v49, v63, v57
	v_fmamk_f32 v122, v125, 0x3f7e222b, v148
	v_fma_f32 v147, 0x3df6dbef, v123, -v147
	v_fmac_f32_e32 v148, 0xbf7e222b, v125
	v_fmamk_f32 v186, v125, 0x3f29c268, v124
	v_add_f32_e32 v71, v117, v73
	v_add_f32_e32 v72, v137, v74
	v_add_f32_e32 v73, v138, v75
	v_add_f32_e32 v68, v121, v68
	v_fma_f32 v57, 0xbf3f9e67, v123, -v126
	v_fmac_f32_e32 v124, 0xbf29c268, v125
	v_sub_f32_e32 v56, v56, v62
	v_fmamk_f32 v62, v127, 0xbeb58ec6, v48
	v_mul_f32_e32 v63, 0xbeb58ec6, v49
	v_fmamk_f32 v177, v123, 0xbf788fa5, v149
	v_fmamk_f32 v178, v125, 0x3e750f2a, v150
	v_add_f32_e32 v74, v167, v157
	v_add_f32_e32 v75, v168, v158
	;; [unrolled: 1-line block ×8, first 2 shown]
	v_fmamk_f32 v68, v56, 0x3f6f5d39, v63
	v_mul_f32_e32 v120, 0x3f29c268, v128
	v_fma_f32 v48, 0xbeb58ec6, v127, -v48
	v_fmac_f32_e32 v63, 0xbf6f5d39, v56
	v_mul_f32_e32 v124, 0xbf3f9e67, v49
	v_fma_f32 v149, 0xbf788fa5, v123, -v149
	v_fmac_f32_e32 v150, 0xbe750f2a, v125
	v_fmamk_f32 v179, v123, 0xbeb58ec6, v151
	v_add_f32_e32 v117, v139, v129
	v_add_f32_e32 v118, v140, v130
	;; [unrolled: 1-line block ×6, first 2 shown]
	v_fmamk_f32 v69, v127, 0xbf3f9e67, v120
	v_add_f32_e32 v48, v48, v70
	v_add_f32_e32 v63, v63, v71
	v_fmamk_f32 v70, v56, 0xbf29c268, v124
	v_mul_f32_e32 v71, 0x3eedf032, v128
	v_fmamk_f32 v180, v125, 0xbf6f5d39, v152
	v_fmac_f32_e32 v152, 0x3f6f5d39, v125
	v_add_f32_e32 v130, v170, v160
	v_add_f32_e32 v132, v142, v132
	;; [unrolled: 1-line block ×6, first 2 shown]
	v_fma_f32 v72, 0xbf3f9e67, v127, -v120
	v_fmac_f32_e32 v124, 0x3f29c268, v56
	v_add_f32_e32 v70, v70, v73
	v_fmamk_f32 v73, v127, 0x3f62ad3f, v71
	v_mul_f32_e32 v120, 0x3f62ad3f, v49
	v_fma_f32 v151, 0xbeb58ec6, v123, -v151
	v_fmamk_f32 v181, v123, 0x3f62ad3f, v153
	v_add_f32_e32 v131, v141, v131
	v_add_f32_e32 v137, v171, v161
	;; [unrolled: 1-line block ×6, first 2 shown]
	v_mul_f32_e32 v75, 0xbf7e222b, v128
	v_add_f32_e32 v73, v73, v117
	v_fmamk_f32 v117, v56, 0xbeedf032, v120
	v_fmac_f32_e32 v120, 0x3eedf032, v56
	v_fmamk_f32 v182, v125, 0xbeedf032, v154
	v_fmac_f32_e32 v154, 0x3eedf032, v125
	v_fmamk_f32 v183, v123, 0x3f116cb1, v155
	v_fmamk_f32 v184, v125, 0x3f52af12, v156
	v_fma_f32 v155, 0x3f116cb1, v123, -v155
	v_fmac_f32_e32 v156, 0xbf52af12, v125
	v_add_f32_e32 v134, v144, v134
	v_add_f32_e32 v135, v145, v135
	;; [unrolled: 1-line block ×4, first 2 shown]
	v_fma_f32 v71, 0x3f62ad3f, v127, -v71
	v_fmamk_f32 v124, v127, 0x3df6dbef, v75
	v_mul_f32_e32 v125, 0x3df6dbef, v49
	v_add_f32_e32 v117, v117, v118
	v_add_f32_e32 v118, v120, v122
	v_mul_f32_e32 v122, 0x3e750f2a, v128
	v_fmamk_f32 v185, v123, 0xbf3f9e67, v126
	v_add_f32_e32 v138, v172, v162
	v_add_f32_e32 v139, v173, v163
	;; [unrolled: 1-line block ×7, first 2 shown]
	v_fmamk_f32 v121, v56, 0x3f7e222b, v125
	v_mul_f32_e32 v124, 0xbf788fa5, v49
	v_fmac_f32_e32 v125, 0xbf7e222b, v56
	v_fmamk_f32 v126, v127, 0xbf788fa5, v122
	v_fma_f32 v122, 0xbf788fa5, v127, -v122
	v_fma_f32 v153, 0x3f62ad3f, v123, -v153
	v_add_f32_e32 v133, v143, v133
	v_add_f32_e32 v136, v146, v136
	;; [unrolled: 1-line block ×6, first 2 shown]
	v_fmamk_f32 v129, v56, 0xbe750f2a, v124
	v_add_f32_e32 v113, v125, v113
	v_mul_f32_e32 v125, 0x3f52af12, v128
	v_add_f32_e32 v115, v122, v115
	v_sub_f32_e32 v122, v59, v61
	v_add_f32_e32 v131, v153, v133
	v_add_f32_e32 v116, v156, v136
	;; [unrolled: 1-line block ×6, first 2 shown]
	v_fmac_f32_e32 v124, 0x3e750f2a, v56
	v_fmamk_f32 v128, v127, 0x3f116cb1, v125
	v_mul_f32_e32 v49, 0x3f116cb1, v49
	v_add_f32_e32 v129, v60, v58
	v_mul_f32_e32 v130, 0xbf29c268, v122
	v_add_f32_e32 v59, v61, v59
	v_add_f32_e32 v116, v124, v116
	v_add_f32_e32 v124, v128, v133
	v_fmamk_f32 v128, v56, 0xbf52af12, v49
	v_fma_f32 v61, 0x3f116cb1, v127, -v125
	v_fmac_f32_e32 v49, 0x3f52af12, v56
	v_sub_f32_e32 v56, v58, v60
	v_fmamk_f32 v58, v129, 0xbf3f9e67, v130
	v_mul_f32_e32 v60, 0xbf3f9e67, v59
	v_add_f32_e32 v57, v61, v57
	v_add_f32_e32 v49, v49, v119
	v_fma_f32 v119, 0xbf3f9e67, v129, -v130
	v_add_f32_e32 v58, v58, v62
	v_fmamk_f32 v61, v56, 0x3f29c268, v60
	v_mul_f32_e32 v62, 0x3f7e222b, v122
	v_fmac_f32_e32 v60, 0xbf29c268, v56
	v_mul_f32_e32 v125, 0x3df6dbef, v59
	v_add_f32_e32 v48, v119, v48
	v_add_f32_e32 v61, v61, v68
	v_fmamk_f32 v68, v129, 0x3df6dbef, v62
	v_add_f32_e32 v60, v60, v63
	v_fmamk_f32 v63, v56, 0xbf7e222b, v125
	v_mul_f32_e32 v119, 0xbf52af12, v122
	v_fma_f32 v62, 0x3df6dbef, v129, -v62
	v_fmac_f32_e32 v125, 0x3f7e222b, v56
	v_add_f32_e32 v68, v68, v69
	v_add_f32_e32 v63, v63, v70
	v_fmamk_f32 v69, v129, 0x3f116cb1, v119
	v_mul_f32_e32 v70, 0x3f116cb1, v59
	v_add_f32_e32 v62, v62, v72
	v_add_f32_e32 v72, v125, v74
	v_mul_f32_e32 v74, 0x3e750f2a, v122
	v_fma_f32 v75, 0x3df6dbef, v127, -v75
	v_add_f32_e32 v69, v69, v73
	v_fmamk_f32 v73, v56, 0x3f52af12, v70
	v_fma_f32 v119, 0x3f116cb1, v129, -v119
	v_fmac_f32_e32 v70, 0xbf52af12, v56
	v_fmamk_f32 v125, v129, 0xbf788fa5, v74
	v_mul_f32_e32 v127, 0xbf788fa5, v59
	v_add_f32_e32 v75, v75, v131
	v_add_f32_e32 v73, v73, v117
	;; [unrolled: 1-line block ×5, first 2 shown]
	v_fmamk_f32 v118, v56, 0xbe750f2a, v127
	v_mul_f32_e32 v119, 0x3eedf032, v122
	v_fma_f32 v74, 0xbf788fa5, v129, -v74
	v_mul_f32_e32 v120, 0x3f62ad3f, v59
	v_add_f32_e32 v142, v176, v166
	v_add_f32_e32 v118, v118, v121
	v_fmamk_f32 v121, v129, 0x3f62ad3f, v119
	v_add_f32_e32 v74, v74, v75
	v_fmamk_f32 v75, v56, 0xbeedf032, v120
	v_mul_f32_e32 v122, 0xbf6f5d39, v122
	v_fma_f32 v119, 0x3f62ad3f, v129, -v119
	v_add_f32_e32 v123, v186, v142
	v_add_f32_e32 v114, v121, v114
	;; [unrolled: 1-line block ×3, first 2 shown]
	v_fmac_f32_e32 v120, 0x3eedf032, v56
	v_fmamk_f32 v121, v129, 0xbeb58ec6, v122
	v_mul_f32_e32 v59, 0xbeb58ec6, v59
	v_add_f32_e32 v115, v119, v115
	v_sub_f32_e32 v119, v53, v55
	v_add_f32_e32 v126, v55, v53
	v_add_f32_e32 v123, v128, v123
	v_fmac_f32_e32 v127, 0x3e750f2a, v56
	v_add_f32_e32 v116, v120, v116
	v_add_f32_e32 v120, v121, v124
	v_fmamk_f32 v121, v56, 0x3f6f5d39, v59
	v_add_f32_e32 v124, v54, v52
	v_mul_f32_e32 v125, 0xbe750f2a, v119
	v_fma_f32 v53, 0xbeb58ec6, v129, -v122
	v_fmac_f32_e32 v59, 0xbf6f5d39, v56
	v_sub_f32_e32 v122, v52, v54
	v_mul_f32_e32 v54, 0xbf788fa5, v126
	v_add_f32_e32 v113, v127, v113
	v_fmamk_f32 v52, v124, 0xbf788fa5, v125
	v_add_f32_e32 v121, v121, v123
	v_add_f32_e32 v123, v53, v57
	;; [unrolled: 1-line block ×3, first 2 shown]
	v_fmamk_f32 v49, v122, 0x3e750f2a, v54
	v_fma_f32 v53, 0xbf788fa5, v124, -v125
	v_mul_f32_e32 v55, 0x3f62ad3f, v126
	v_add_f32_e32 v56, v52, v58
	v_mul_f32_e32 v52, 0x3eedf032, v119
	v_add_f32_e32 v57, v49, v61
	v_add_f32_e32 v48, v53, v48
	v_fmamk_f32 v53, v122, 0xbeedf032, v55
	v_mul_f32_e32 v61, 0xbf29c268, v119
	v_fmac_f32_e32 v54, 0xbe750f2a, v122
	v_fmamk_f32 v58, v124, 0x3f62ad3f, v52
	v_fma_f32 v52, 0x3f62ad3f, v124, -v52
	v_add_f32_e32 v59, v53, v63
	v_fmamk_f32 v53, v124, 0xbf3f9e67, v61
	v_mul_f32_e32 v63, 0xbf3f9e67, v126
	v_add_f32_e32 v49, v54, v60
	v_add_f32_e32 v54, v52, v62
	;; [unrolled: 1-line block ×4, first 2 shown]
	v_fmamk_f32 v52, v122, 0x3f29c268, v63
	v_fma_f32 v53, 0xbf3f9e67, v124, -v61
	v_fmac_f32_e32 v63, 0xbf29c268, v122
	v_mul_f32_e32 v68, 0x3f52af12, v119
	v_mul_f32_e32 v69, 0x3f116cb1, v126
	v_add_f32_e32 v61, v52, v73
	v_add_f32_e32 v52, v53, v71
	;; [unrolled: 1-line block ×3, first 2 shown]
	v_mul_f32_e32 v70, 0xbf6f5d39, v119
	v_fmac_f32_e32 v55, 0x3eedf032, v122
	v_fmamk_f32 v62, v124, 0x3f116cb1, v68
	v_fmamk_f32 v63, v122, 0xbf52af12, v69
	v_fma_f32 v68, 0x3f116cb1, v124, -v68
	v_fmac_f32_e32 v69, 0x3f52af12, v122
	v_mul_f32_e32 v73, 0xbeb58ec6, v126
	v_fmamk_f32 v71, v124, 0xbeb58ec6, v70
	v_add_f32_e32 v55, v55, v72
	v_add_f32_e32 v68, v68, v74
	;; [unrolled: 1-line block ×3, first 2 shown]
	v_fmamk_f32 v72, v122, 0x3f6f5d39, v73
	v_fma_f32 v74, 0xbeb58ec6, v124, -v70
	v_add_f32_e32 v70, v71, v114
	v_mul_f32_e32 v113, 0x3f7e222b, v119
	v_mul_f32_e32 v114, 0x3df6dbef, v126
	v_add_f32_e32 v71, v72, v75
	v_add_f32_e32 v72, v74, v115
	v_fmac_f32_e32 v73, 0xbf6f5d39, v122
	v_fmamk_f32 v74, v124, 0x3df6dbef, v113
	v_fmamk_f32 v75, v122, 0xbf7e222b, v114
	v_fma_f32 v113, 0x3df6dbef, v124, -v113
	v_fmac_f32_e32 v114, 0x3f7e222b, v122
	v_add_f32_e32 v62, v62, v117
	v_add_f32_e32 v63, v63, v118
	v_add_f32_e32 v74, v74, v120
	v_add_f32_e32 v75, v75, v121
	v_add_f32_e32 v113, v113, v123
	v_add_f32_e32 v114, v114, v127
	v_add_f32_e32 v73, v73, v116
	ds_write2_b64 v64, v[66:67], v[56:57] offset1:1
	ds_write2_b64 v64, v[58:59], v[60:61] offset0:2 offset1:3
	ds_write2_b64 v64, v[62:63], v[70:71] offset0:4 offset1:5
	;; [unrolled: 1-line block ×5, first 2 shown]
	ds_write_b64 v64, v[48:49] offset:96
	v_add_nc_u32_e32 v113, 0xc00, v106
	s_waitcnt lgkmcnt(0)
	s_barrier
	buffer_gl0_inv
	ds_read2_b64 v[56:59], v106 offset1:65
	ds_read2_b64 v[72:75], v106 offset0:169 offset1:234
	ds_read2_b64 v[68:71], v65 offset0:82 offset1:147
	;; [unrolled: 1-line block ×4, first 2 shown]
	s_and_saveexec_b32 s0, vcc_lo
	s_cbranch_execz .LBB0_7
; %bb.6:
	v_add_nc_u32_e32 v52, 0x400, v106
	ds_read2_b64 v[48:51], v113 offset0:84 offset1:253
	ds_read2_b64 v[52:55], v52 offset0:2 offset1:171
	ds_read_b64 v[103:104], v106 offset:6448
.LBB0_7:
	s_or_b32 exec_lo, exec_lo, s0
	s_waitcnt lgkmcnt(3)
	v_mul_f32_e32 v112, v25, v73
	v_mul_f32_e32 v25, v25, v72
	s_waitcnt lgkmcnt(2)
	v_mul_f32_e32 v113, v27, v69
	v_mul_f32_e32 v27, v27, v68
	s_waitcnt lgkmcnt(0)
	v_fmac_f32_e32 v112, v24, v72
	v_fma_f32 v24, v24, v73, -v25
	v_mul_f32_e32 v25, v13, v65
	v_mul_f32_e32 v13, v13, v64
	;; [unrolled: 1-line block ×3, first 2 shown]
	v_fmac_f32_e32 v113, v26, v68
	v_fma_f32 v26, v26, v69, -v27
	v_fmac_f32_e32 v25, v12, v64
	v_fma_f32 v27, v12, v65, -v13
	v_mul_f32_e32 v12, v15, v60
	v_mul_f32_e32 v13, v17, v74
	v_fmac_f32_e32 v72, v14, v60
	v_mul_f32_e32 v64, v17, v75
	v_mul_f32_e32 v65, v19, v71
	;; [unrolled: 1-line block ×3, first 2 shown]
	v_fma_f32 v60, v14, v61, -v12
	v_fma_f32 v68, v16, v75, -v13
	v_mul_f32_e32 v61, v9, v67
	v_mul_f32_e32 v13, v9, v66
	v_add_f32_e32 v14, v56, v112
	v_fmac_f32_e32 v64, v16, v74
	v_fmac_f32_e32 v65, v18, v70
	v_fma_f32 v69, v18, v71, -v15
	v_add_f32_e32 v12, v113, v25
	v_fmac_f32_e32 v61, v8, v66
	v_fma_f32 v8, v8, v67, -v13
	v_add_f32_e32 v13, v14, v113
	v_sub_f32_e32 v14, v112, v113
	v_sub_f32_e32 v16, v72, v25
	v_add_f32_e32 v18, v112, v72
	v_mul_f32_e32 v70, v11, v63
	v_fma_f32 v9, -0.5, v12, v56
	v_sub_f32_e32 v15, v24, v60
	v_sub_f32_e32 v17, v26, v27
	v_mul_f32_e32 v11, v11, v62
	v_add_f32_e32 v13, v13, v25
	v_add_f32_e32 v19, v14, v16
	v_fma_f32 v14, -0.5, v18, v56
	v_fmac_f32_e32 v70, v10, v62
	v_fmamk_f32 v12, v15, 0xbf737871, v9
	v_fma_f32 v11, v10, v63, -v11
	v_add_f32_e32 v16, v13, v72
	v_fmac_f32_e32 v9, 0x3f737871, v15
	v_fmamk_f32 v18, v17, 0x3f737871, v14
	v_sub_f32_e32 v10, v113, v112
	v_sub_f32_e32 v13, v25, v72
	v_add_f32_e32 v56, v57, v24
	v_add_f32_e32 v62, v26, v27
	v_fmac_f32_e32 v14, 0xbf737871, v17
	v_fmac_f32_e32 v12, 0xbf167918, v17
	;; [unrolled: 1-line block ×4, first 2 shown]
	v_add_f32_e32 v63, v10, v13
	v_add_f32_e32 v13, v56, v26
	v_fma_f32 v10, -0.5, v62, v57
	v_sub_f32_e32 v56, v112, v72
	v_fmac_f32_e32 v14, 0x3f167918, v15
	v_add_f32_e32 v15, v24, v60
	v_fmac_f32_e32 v12, 0x3e9e377a, v19
	v_fmac_f32_e32 v9, 0x3e9e377a, v19
	v_add_f32_e32 v17, v13, v27
	v_fmamk_f32 v13, v56, 0x3f737871, v10
	v_sub_f32_e32 v25, v113, v25
	v_sub_f32_e32 v19, v24, v26
	;; [unrolled: 1-line block ×3, first 2 shown]
	v_fma_f32 v15, -0.5, v15, v57
	v_fmac_f32_e32 v10, 0xbf737871, v56
	v_sub_f32_e32 v24, v26, v24
	v_sub_f32_e32 v26, v27, v60
	v_add_f32_e32 v27, v65, v61
	v_add_f32_e32 v17, v17, v60
	v_fmac_f32_e32 v13, 0x3f167918, v25
	v_add_f32_e32 v57, v19, v62
	v_fmamk_f32 v19, v25, 0xbf737871, v15
	v_fmac_f32_e32 v10, 0xbf167918, v25
	v_add_f32_e32 v60, v24, v26
	v_fmac_f32_e32 v15, 0x3f737871, v25
	v_fma_f32 v24, -0.5, v27, v58
	v_sub_f32_e32 v27, v68, v11
	v_add_f32_e32 v25, v58, v64
	v_fmac_f32_e32 v13, 0x3e9e377a, v57
	v_fmac_f32_e32 v19, 0x3f167918, v56
	;; [unrolled: 1-line block ×4, first 2 shown]
	v_fmamk_f32 v26, v27, 0xbf737871, v24
	v_sub_f32_e32 v57, v69, v8
	v_sub_f32_e32 v56, v64, v65
	;; [unrolled: 1-line block ×3, first 2 shown]
	v_fmac_f32_e32 v24, 0x3f737871, v27
	v_fmac_f32_e32 v18, 0x3e9e377a, v63
	;; [unrolled: 1-line block ×3, first 2 shown]
	v_add_f32_e32 v25, v25, v65
	v_add_f32_e32 v63, v64, v70
	v_fmac_f32_e32 v26, 0xbf167918, v57
	v_add_f32_e32 v62, v56, v62
	v_fmac_f32_e32 v24, 0x3f167918, v57
	v_add_f32_e32 v25, v25, v61
	v_fma_f32 v58, -0.5, v63, v58
	v_sub_f32_e32 v63, v61, v70
	v_fmac_f32_e32 v26, 0x3e9e377a, v62
	v_fmac_f32_e32 v24, 0x3e9e377a, v62
	v_sub_f32_e32 v62, v65, v64
	v_fmac_f32_e32 v19, 0x3e9e377a, v60
	v_fmac_f32_e32 v15, 0x3e9e377a, v60
	v_add_f32_e32 v56, v25, v70
	v_fmamk_f32 v60, v57, 0x3f737871, v58
	v_add_f32_e32 v25, v69, v8
	v_fmac_f32_e32 v58, 0xbf737871, v57
	v_add_f32_e32 v57, v59, v68
	v_add_f32_e32 v62, v62, v63
	;; [unrolled: 1-line block ×3, first 2 shown]
	v_fma_f32 v25, -0.5, v25, v59
	v_sub_f32_e32 v64, v64, v70
	v_fmac_f32_e32 v60, 0xbf167918, v27
	v_fmac_f32_e32 v58, 0x3f167918, v27
	v_add_f32_e32 v57, v57, v69
	v_sub_f32_e32 v65, v65, v61
	v_fmac_f32_e32 v59, -0.5, v63
	v_fmamk_f32 v27, v64, 0x3f737871, v25
	v_fmac_f32_e32 v60, 0x3e9e377a, v62
	v_fmac_f32_e32 v58, 0x3e9e377a, v62
	v_sub_f32_e32 v62, v68, v69
	v_sub_f32_e32 v63, v11, v8
	v_add_f32_e32 v57, v57, v8
	v_fmamk_f32 v61, v65, 0xbf737871, v59
	v_sub_f32_e32 v66, v69, v68
	v_sub_f32_e32 v8, v8, v11
	v_fmac_f32_e32 v59, 0x3f737871, v65
	v_fmac_f32_e32 v25, 0xbf737871, v64
	;; [unrolled: 1-line block ×3, first 2 shown]
	v_add_f32_e32 v62, v62, v63
	v_fmac_f32_e32 v61, 0x3f167918, v64
	v_add_f32_e32 v8, v66, v8
	v_fmac_f32_e32 v59, 0xbf167918, v64
	v_fmac_f32_e32 v25, 0xbf167918, v65
	v_add_f32_e32 v57, v57, v11
	v_fmac_f32_e32 v27, 0x3e9e377a, v62
	v_fmac_f32_e32 v61, 0x3e9e377a, v8
	;; [unrolled: 1-line block ×4, first 2 shown]
	s_barrier
	buffer_gl0_inv
	ds_write2_b64 v111, v[16:17], v[12:13] offset1:13
	ds_write2_b64 v111, v[18:19], v[14:15] offset0:26 offset1:39
	ds_write_b64 v111, v[9:10] offset:416
	ds_write2_b64 v110, v[56:57], v[26:27] offset1:13
	ds_write2_b64 v110, v[60:61], v[58:59] offset0:26 offset1:39
	ds_write_b64 v110, v[24:25] offset:416
	s_and_saveexec_b32 s0, vcc_lo
	s_cbranch_execz .LBB0_9
; %bb.8:
	v_mul_f32_e32 v8, v5, v54
	v_mul_f32_e32 v9, v3, v103
	;; [unrolled: 1-line block ×6, first 2 shown]
	v_fma_f32 v8, v4, v55, -v8
	v_fma_f32 v9, v2, v104, -v9
	;; [unrolled: 1-line block ×3, first 2 shown]
	v_mul_f32_e32 v14, v3, v104
	v_fma_f32 v15, v0, v51, -v1
	v_fmac_f32_e32 v11, v6, v48
	v_fmac_f32_e32 v12, v0, v50
	v_add_f32_e32 v6, v8, v9
	v_mul_f32_e32 v13, v5, v55
	v_fmac_f32_e32 v14, v2, v103
	v_sub_f32_e32 v0, v10, v8
	v_sub_f32_e32 v2, v15, v9
	;; [unrolled: 1-line block ×3, first 2 shown]
	v_fma_f32 v1, -0.5, v6, v53
	v_fmac_f32_e32 v13, v4, v54
	v_sub_f32_e32 v6, v8, v10
	v_add_f32_e32 v0, v0, v2
	v_add_f32_e32 v2, v10, v15
	v_fmamk_f32 v3, v16, 0x3f737871, v1
	v_sub_f32_e32 v4, v13, v14
	v_fmac_f32_e32 v1, 0xbf737871, v16
	v_sub_f32_e32 v7, v9, v15
	v_fma_f32 v5, -0.5, v2, v53
	v_add_f32_e32 v2, v53, v8
	v_fmac_f32_e32 v3, 0xbf167918, v4
	v_fmac_f32_e32 v1, 0x3f167918, v4
	v_add_f32_e32 v6, v6, v7
	v_fmamk_f32 v7, v4, 0xbf737871, v5
	v_fmac_f32_e32 v5, 0x3f737871, v4
	v_add_f32_e32 v4, v2, v10
	v_sub_f32_e32 v17, v10, v15
	v_fmac_f32_e32 v3, 0x3e9e377a, v0
	v_fmac_f32_e32 v1, 0x3e9e377a, v0
	v_add_f32_e32 v0, v13, v14
	v_add_f32_e32 v4, v4, v15
	v_add_f32_e32 v15, v11, v12
	v_sub_f32_e32 v10, v11, v13
	v_sub_f32_e32 v18, v12, v14
	;; [unrolled: 1-line block ×3, first 2 shown]
	v_fmac_f32_e32 v7, 0xbf167918, v16
	v_fmac_f32_e32 v5, 0x3f167918, v16
	v_add_f32_e32 v9, v4, v9
	v_fma_f32 v4, -0.5, v15, v52
	v_sub_f32_e32 v15, v13, v11
	v_add_f32_e32 v13, v52, v13
	v_mov_b32_e32 v16, 0x41
	v_fma_f32 v0, -0.5, v0, v52
	v_add_f32_e32 v10, v10, v18
	v_fmac_f32_e32 v7, 0x3e9e377a, v6
	v_fmac_f32_e32 v5, 0x3e9e377a, v6
	v_sub_f32_e32 v18, v14, v12
	v_fmamk_f32 v6, v8, 0x3f737871, v4
	v_fmac_f32_e32 v4, 0xbf737871, v8
	v_add_f32_e32 v11, v13, v11
	v_mul_u32_u24_sdwa v13, v109, v16 dst_sel:DWORD dst_unused:UNUSED_PAD src0_sel:WORD_0 src1_sel:DWORD
	v_fmamk_f32 v2, v17, 0xbf737871, v0
	v_fmac_f32_e32 v0, 0x3f737871, v17
	v_add_f32_e32 v15, v15, v18
	v_fmac_f32_e32 v4, 0xbf167918, v17
	v_add_f32_e32 v11, v11, v12
	v_add_nc_u32_sdwa v12, v13, v108 dst_sel:DWORD dst_unused:UNUSED_PAD src0_sel:DWORD src1_sel:BYTE_0
	v_fmac_f32_e32 v2, 0x3f167918, v8
	v_fmac_f32_e32 v0, 0xbf167918, v8
	;; [unrolled: 1-line block ×4, first 2 shown]
	v_add_f32_e32 v8, v11, v14
	v_lshl_add_u32 v11, v12, 3, v107
	v_fmac_f32_e32 v2, 0x3e9e377a, v10
	v_fmac_f32_e32 v0, 0x3e9e377a, v10
	;; [unrolled: 1-line block ×3, first 2 shown]
	ds_write2_b64 v11, v[8:9], v[4:5] offset1:13
	ds_write2_b64 v11, v[0:1], v[2:3] offset0:26 offset1:39
	ds_write_b64 v11, v[6:7] offset:416
.LBB0_9:
	s_or_b32 exec_lo, exec_lo, s0
	s_waitcnt lgkmcnt(0)
	s_barrier
	buffer_gl0_inv
	ds_read2_b64 v[10:13], v106 offset1:65
	ds_read2_b64 v[4:7], v106 offset0:130 offset1:195
	v_add_nc_u32_e32 v3, 0x800, v106
	v_add_nc_u32_e32 v2, 0x1000, v106
	s_mov_b32 s0, 0x622898b1
	s_mov_b32 s1, 0x3f5363ac
	s_mul_i32 s2, s9, 0x208
	ds_read2_b64 v[14:17], v3 offset0:4 offset1:69
	ds_read_b64 v[0:1], v106 offset:6240
	ds_read2_b64 v[24:27], v3 offset0:134 offset1:199
	ds_read2_b64 v[48:51], v2 offset0:8 offset1:73
	;; [unrolled: 1-line block ×3, first 2 shown]
	s_mul_hi_u32 s3, s8, 0x208
	s_add_i32 s2, s3, s2
	s_mul_i32 s3, s8, 0x208
	s_waitcnt lgkmcnt(6)
	v_mul_f32_e32 v18, v45, v13
	v_mul_f32_e32 v8, v45, v12
	s_waitcnt lgkmcnt(5)
	v_mul_f32_e32 v19, v47, v5
	v_mul_f32_e32 v9, v47, v4
	;; [unrolled: 1-line block ×4, first 2 shown]
	v_fmac_f32_e32 v18, v44, v12
	v_fma_f32 v12, v44, v13, -v8
	v_fmac_f32_e32 v19, v46, v4
	s_waitcnt lgkmcnt(4)
	v_mul_f32_e32 v44, v43, v15
	v_mul_f32_e32 v4, v43, v14
	v_fma_f32 v13, v46, v5, -v9
	v_fmac_f32_e32 v45, v40, v6
	v_fma_f32 v40, v40, v7, -v41
	v_fmac_f32_e32 v44, v42, v14
	v_fma_f32 v14, v42, v15, -v4
	v_add_f32_e32 v7, v10, v18
	v_add_f32_e32 v15, v11, v12
	v_mul_f32_e32 v8, v33, v17
	v_mul_f32_e32 v5, v33, v16
	s_waitcnt lgkmcnt(2)
	v_mul_f32_e32 v4, v35, v25
	v_add_f32_e32 v7, v7, v19
	v_add_f32_e32 v15, v15, v13
	v_fmac_f32_e32 v8, v32, v16
	v_fma_f32 v9, v32, v17, -v5
	v_mul_f32_e32 v5, v21, v27
	v_mul_f32_e32 v16, v21, v26
	v_add_f32_e32 v21, v7, v45
	v_add_f32_e32 v15, v15, v40
	v_mul_f32_e32 v6, v35, v24
	v_fmac_f32_e32 v5, v20, v26
	v_fma_f32 v7, v20, v27, -v16
	v_add_f32_e32 v20, v21, v44
	v_add_f32_e32 v15, v15, v14
	v_fmac_f32_e32 v4, v34, v24
	v_fma_f32 v6, v34, v25, -v6
	s_waitcnt lgkmcnt(1)
	v_mul_f32_e32 v17, v23, v49
	v_add_f32_e32 v20, v20, v8
	v_add_f32_e32 v15, v15, v9
	v_mul_f32_e32 v16, v23, v48
	v_mul_f32_e32 v21, v37, v51
	v_fmac_f32_e32 v17, v22, v48
	v_add_f32_e32 v20, v20, v4
	v_add_f32_e32 v15, v15, v6
	v_fma_f32 v16, v22, v49, -v16
	v_mul_f32_e32 v22, v37, v50
	v_mul_f32_e32 v26, v31, v0
	v_add_f32_e32 v20, v20, v5
	v_add_f32_e32 v15, v15, v7
	v_fmac_f32_e32 v21, v36, v50
	s_waitcnt lgkmcnt(0)
	v_mul_f32_e32 v23, v39, v53
	v_fma_f32 v22, v36, v51, -v22
	v_mul_f32_e32 v24, v39, v52
	v_add_f32_e32 v20, v20, v17
	v_add_f32_e32 v15, v15, v16
	v_mul_f32_e32 v27, v31, v1
	v_fma_f32 v1, v30, v1, -v26
	v_fmac_f32_e32 v23, v38, v52
	v_mul_f32_e32 v25, v29, v55
	v_fma_f32 v24, v38, v53, -v24
	v_mul_f32_e32 v26, v29, v54
	v_add_f32_e32 v20, v20, v21
	v_add_f32_e32 v15, v15, v22
	v_fmac_f32_e32 v27, v30, v0
	v_sub_f32_e32 v29, v12, v1
	v_fmac_f32_e32 v25, v28, v54
	v_fma_f32 v26, v28, v55, -v26
	v_add_f32_e32 v0, v20, v23
	v_add_f32_e32 v15, v15, v24
	;; [unrolled: 1-line block ×3, first 2 shown]
	v_mul_f32_e32 v28, 0xbeedf032, v29
	v_add_f32_e32 v12, v12, v1
	v_sub_f32_e32 v51, v13, v26
	v_add_f32_e32 v15, v15, v26
	v_add_f32_e32 v0, v0, v25
	v_fmamk_f32 v30, v20, 0x3f62ad3f, v28
	v_sub_f32_e32 v18, v18, v27
	v_mul_f32_e32 v31, 0x3f62ad3f, v12
	v_add_f32_e32 v1, v15, v1
	v_mul_f32_e32 v32, 0x3f116cb1, v12
	v_add_f32_e32 v15, v10, v30
	v_mul_f32_e32 v30, 0xbf52af12, v29
	v_mul_f32_e32 v35, 0xbf7e222b, v29
	;; [unrolled: 1-line block ×9, first 2 shown]
	v_add_f32_e32 v53, v19, v25
	v_mul_f32_e32 v54, 0xbf52af12, v51
	v_add_f32_e32 v13, v13, v26
	v_add_f32_e32 v0, v0, v27
	v_fmamk_f32 v27, v18, 0x3eedf032, v31
	v_fma_f32 v28, 0x3f62ad3f, v20, -v28
	v_fmac_f32_e32 v31, 0xbeedf032, v18
	v_fmamk_f32 v33, v20, 0x3f116cb1, v30
	v_fmamk_f32 v34, v18, 0x3f52af12, v32
	v_fma_f32 v30, 0x3f116cb1, v20, -v30
	v_fmac_f32_e32 v32, 0xbf52af12, v18
	v_fmamk_f32 v36, v20, 0x3df6dbef, v35
	;; [unrolled: 4-line block ×5, first 2 shown]
	v_fmamk_f32 v52, v18, 0x3e750f2a, v12
	v_fma_f32 v20, 0xbf788fa5, v20, -v29
	v_fmac_f32_e32 v12, 0xbe750f2a, v18
	v_sub_f32_e32 v18, v19, v25
	v_fmamk_f32 v19, v53, 0x3f116cb1, v54
	v_mul_f32_e32 v25, 0x3f116cb1, v13
	v_add_f32_e32 v27, v11, v27
	v_add_f32_e32 v28, v10, v28
	;; [unrolled: 1-line block ×24, first 2 shown]
	v_fmamk_f32 v15, v18, 0x3f52af12, v25
	v_mul_f32_e32 v19, 0xbf6f5d39, v51
	v_fma_f32 v20, 0x3f116cb1, v53, -v54
	v_fmac_f32_e32 v25, 0xbf52af12, v18
	v_mul_f32_e32 v29, 0xbeb58ec6, v13
	v_add_f32_e32 v15, v15, v27
	v_fmamk_f32 v27, v53, 0xbeb58ec6, v19
	v_add_f32_e32 v20, v20, v28
	v_add_f32_e32 v25, v25, v31
	v_fmamk_f32 v28, v18, 0x3f6f5d39, v29
	v_mul_f32_e32 v31, 0xbe750f2a, v51
	v_fma_f32 v19, 0xbeb58ec6, v53, -v19
	v_add_f32_e32 v27, v27, v33
	v_fmac_f32_e32 v29, 0xbf6f5d39, v18
	v_add_f32_e32 v28, v28, v34
	v_fmamk_f32 v33, v53, 0xbf788fa5, v31
	v_mul_f32_e32 v34, 0xbf788fa5, v13
	v_add_f32_e32 v19, v19, v30
	v_mul_f32_e32 v30, 0x3f29c268, v51
	v_add_f32_e32 v29, v29, v32
	v_add_f32_e32 v32, v33, v36
	v_fmamk_f32 v33, v18, 0x3e750f2a, v34
	v_fma_f32 v31, 0xbf788fa5, v53, -v31
	v_fmac_f32_e32 v34, 0xbe750f2a, v18
	v_fmamk_f32 v36, v53, 0xbf3f9e67, v30
	v_mul_f32_e32 v52, 0xbf3f9e67, v13
	v_add_f32_e32 v33, v33, v39
	v_add_f32_e32 v31, v31, v35
	;; [unrolled: 1-line block ×4, first 2 shown]
	v_fmamk_f32 v36, v18, 0xbf29c268, v52
	v_mul_f32_e32 v37, 0x3f7e222b, v51
	v_fma_f32 v30, 0xbf3f9e67, v53, -v30
	v_mul_f32_e32 v39, 0x3df6dbef, v13
	v_mul_f32_e32 v13, 0x3f62ad3f, v13
	v_add_f32_e32 v36, v36, v43
	v_fmamk_f32 v41, v53, 0x3df6dbef, v37
	v_mul_f32_e32 v43, 0x3eedf032, v51
	v_fma_f32 v37, 0x3df6dbef, v53, -v37
	v_add_f32_e32 v30, v30, v38
	v_fmamk_f32 v38, v18, 0xbf7e222b, v39
	v_add_f32_e32 v41, v41, v48
	v_fmac_f32_e32 v39, 0x3f7e222b, v18
	v_fmamk_f32 v48, v53, 0x3f62ad3f, v43
	v_add_f32_e32 v37, v37, v46
	v_sub_f32_e32 v46, v40, v24
	v_add_f32_e32 v38, v38, v49
	v_add_f32_e32 v39, v39, v47
	;; [unrolled: 1-line block ×4, first 2 shown]
	v_mul_f32_e32 v50, 0xbf7e222b, v46
	v_add_f32_e32 v24, v40, v24
	v_fmac_f32_e32 v52, 0x3f29c268, v18
	v_fmamk_f32 v48, v18, 0xbeedf032, v13
	v_fma_f32 v40, 0x3f62ad3f, v53, -v43
	v_fmac_f32_e32 v13, 0x3eedf032, v18
	v_sub_f32_e32 v18, v45, v23
	v_fmamk_f32 v23, v49, 0x3df6dbef, v50
	v_mul_f32_e32 v43, 0x3df6dbef, v24
	v_add_f32_e32 v10, v40, v10
	v_add_f32_e32 v11, v13, v11
	v_fma_f32 v40, 0x3df6dbef, v49, -v50
	v_add_f32_e32 v12, v23, v12
	v_fmamk_f32 v13, v18, 0x3f7e222b, v43
	v_mul_f32_e32 v23, 0xbe750f2a, v46
	v_fmac_f32_e32 v43, 0xbf7e222b, v18
	v_mul_f32_e32 v45, 0xbf788fa5, v24
	v_add_f32_e32 v20, v40, v20
	v_add_f32_e32 v13, v13, v15
	v_fmamk_f32 v15, v49, 0xbf788fa5, v23
	v_add_f32_e32 v25, v43, v25
	v_fmamk_f32 v40, v18, 0x3e750f2a, v45
	v_mul_f32_e32 v43, 0x3f6f5d39, v46
	v_fma_f32 v23, 0xbf788fa5, v49, -v23
	v_fmac_f32_e32 v45, 0xbe750f2a, v18
	v_add_f32_e32 v15, v15, v27
	v_add_f32_e32 v27, v40, v28
	v_fmamk_f32 v28, v49, 0xbeb58ec6, v43
	v_mul_f32_e32 v40, 0xbeb58ec6, v24
	v_add_f32_e32 v19, v23, v19
	v_add_f32_e32 v23, v45, v29
	v_mul_f32_e32 v29, 0x3eedf032, v46
	v_add_f32_e32 v26, v48, v26
	v_add_f32_e32 v28, v28, v32
	v_fmamk_f32 v32, v18, 0xbf6f5d39, v40
	v_fmac_f32_e32 v40, 0x3f6f5d39, v18
	v_fmamk_f32 v45, v49, 0x3f62ad3f, v29
	v_mul_f32_e32 v48, 0x3f62ad3f, v24
	v_fma_f32 v43, 0xbeb58ec6, v49, -v43
	v_add_f32_e32 v32, v32, v33
	v_add_f32_e32 v33, v40, v34
	;; [unrolled: 1-line block ×3, first 2 shown]
	v_fmamk_f32 v35, v18, 0xbeedf032, v48
	v_mul_f32_e32 v40, 0xbf52af12, v46
	v_add_f32_e32 v31, v43, v31
	v_fma_f32 v29, 0x3f62ad3f, v49, -v29
	v_mul_f32_e32 v43, 0x3f116cb1, v24
	v_add_f32_e32 v35, v35, v36
	v_fmamk_f32 v36, v49, 0x3f116cb1, v40
	v_fma_f32 v40, 0x3f116cb1, v49, -v40
	v_add_f32_e32 v29, v29, v30
	v_fmamk_f32 v30, v18, 0x3f52af12, v43
	v_fmac_f32_e32 v43, 0xbf52af12, v18
	v_mul_f32_e32 v45, 0xbf29c268, v46
	v_add_f32_e32 v37, v40, v37
	v_sub_f32_e32 v40, v14, v22
	v_mul_f32_e32 v24, 0xbf3f9e67, v24
	v_add_f32_e32 v39, v43, v39
	v_add_f32_e32 v43, v44, v21
	;; [unrolled: 1-line block ×3, first 2 shown]
	v_mul_f32_e32 v46, 0xbf6f5d39, v40
	v_fmac_f32_e32 v48, 0x3eedf032, v18
	v_add_f32_e32 v36, v36, v41
	v_fmamk_f32 v41, v18, 0x3f29c268, v24
	v_fma_f32 v22, 0xbf3f9e67, v49, -v45
	v_fmac_f32_e32 v24, 0xbf29c268, v18
	v_sub_f32_e32 v18, v44, v21
	v_fmamk_f32 v21, v43, 0xbeb58ec6, v46
	v_mul_f32_e32 v44, 0xbeb58ec6, v14
	v_add_f32_e32 v10, v22, v10
	v_mul_f32_e32 v22, 0x3f29c268, v40
	v_add_f32_e32 v26, v41, v26
	v_add_f32_e32 v12, v21, v12
	v_fmamk_f32 v21, v18, 0x3f6f5d39, v44
	v_add_f32_e32 v11, v24, v11
	v_fma_f32 v24, 0xbeb58ec6, v43, -v46
	v_fmac_f32_e32 v44, 0xbf6f5d39, v18
	v_mul_f32_e32 v41, 0xbf3f9e67, v14
	v_add_f32_e32 v13, v21, v13
	v_fmamk_f32 v21, v43, 0xbf3f9e67, v22
	v_add_f32_e32 v20, v24, v20
	v_add_f32_e32 v24, v44, v25
	v_fmamk_f32 v25, v18, 0xbf29c268, v41
	v_mul_f32_e32 v44, 0x3eedf032, v40
	v_add_f32_e32 v15, v21, v15
	v_fma_f32 v21, 0xbf3f9e67, v43, -v22
	v_fmac_f32_e32 v41, 0x3f29c268, v18
	v_add_f32_e32 v22, v25, v27
	v_fmamk_f32 v25, v43, 0x3f62ad3f, v44
	v_mul_f32_e32 v27, 0x3f62ad3f, v14
	v_add_f32_e32 v19, v21, v19
	v_add_f32_e32 v21, v41, v23
	v_mul_f32_e32 v23, 0xbf7e222b, v40
	v_add_f32_e32 v30, v30, v38
	v_fmamk_f32 v38, v49, 0xbf3f9e67, v45
	v_add_f32_e32 v25, v25, v28
	v_fmamk_f32 v28, v18, 0xbeedf032, v27
	v_fma_f32 v41, 0x3f62ad3f, v43, -v44
	v_fmac_f32_e32 v27, 0x3eedf032, v18
	v_fmamk_f32 v44, v43, 0x3df6dbef, v23
	v_mul_f32_e32 v45, 0x3df6dbef, v14
	v_add_f32_e32 v28, v28, v32
	v_add_f32_e32 v31, v41, v31
	;; [unrolled: 1-line block ×4, first 2 shown]
	v_fmamk_f32 v33, v18, 0x3f7e222b, v45
	v_mul_f32_e32 v34, 0x3e750f2a, v40
	v_fma_f32 v23, 0x3df6dbef, v43, -v23
	v_mul_f32_e32 v41, 0xbf788fa5, v14
	v_mul_f32_e32 v40, 0x3f52af12, v40
	v_add_f32_e32 v33, v33, v35
	v_fmamk_f32 v35, v43, 0xbf788fa5, v34
	v_add_f32_e32 v23, v23, v29
	v_fmamk_f32 v29, v18, 0xbe750f2a, v41
	v_add_f32_e32 v38, v38, v47
	v_fma_f32 v34, 0xbf788fa5, v43, -v34
	v_add_f32_e32 v35, v35, v36
	v_fmac_f32_e32 v41, 0x3e750f2a, v18
	v_add_f32_e32 v29, v29, v30
	v_fmamk_f32 v30, v43, 0x3f116cb1, v40
	v_mul_f32_e32 v14, 0x3f116cb1, v14
	v_sub_f32_e32 v36, v9, v16
	v_add_f32_e32 v9, v9, v16
	v_fmac_f32_e32 v45, 0xbf7e222b, v18
	v_add_f32_e32 v34, v34, v37
	v_add_f32_e32 v37, v41, v39
	;; [unrolled: 1-line block ×3, first 2 shown]
	v_fmamk_f32 v38, v18, 0xbf52af12, v14
	v_add_f32_e32 v39, v8, v17
	v_mul_f32_e32 v41, 0xbf29c268, v36
	v_fma_f32 v16, 0x3f116cb1, v43, -v40
	v_fmac_f32_e32 v14, 0x3f52af12, v18
	v_sub_f32_e32 v8, v8, v17
	v_mul_f32_e32 v18, 0xbf3f9e67, v9
	v_fmamk_f32 v17, v39, 0xbf3f9e67, v41
	v_add_f32_e32 v10, v16, v10
	v_add_f32_e32 v11, v14, v11
	v_mul_f32_e32 v16, 0x3f7e222b, v36
	v_fmamk_f32 v14, v8, 0x3f29c268, v18
	v_add_f32_e32 v26, v38, v26
	v_add_f32_e32 v12, v17, v12
	v_fma_f32 v17, 0xbf3f9e67, v39, -v41
	v_fmac_f32_e32 v18, 0xbf29c268, v8
	v_mul_f32_e32 v38, 0x3df6dbef, v9
	v_add_f32_e32 v13, v14, v13
	v_fmamk_f32 v14, v39, 0x3df6dbef, v16
	v_add_f32_e32 v17, v17, v20
	v_add_f32_e32 v18, v18, v24
	v_fmamk_f32 v20, v8, 0xbf7e222b, v38
	v_mul_f32_e32 v24, 0xbf52af12, v36
	v_add_f32_e32 v14, v14, v15
	v_fma_f32 v15, 0x3df6dbef, v39, -v16
	v_fmac_f32_e32 v38, 0x3f7e222b, v8
	v_add_f32_e32 v16, v20, v22
	v_fmamk_f32 v20, v39, 0x3f116cb1, v24
	v_mul_f32_e32 v22, 0x3f116cb1, v9
	v_add_f32_e32 v15, v15, v19
	v_add_f32_e32 v19, v38, v21
	v_mul_f32_e32 v21, 0x3e750f2a, v36
	v_add_f32_e32 v42, v52, v42
	v_add_f32_e32 v20, v20, v25
	v_fmamk_f32 v25, v8, 0x3f52af12, v22
	v_fmac_f32_e32 v22, 0xbf52af12, v8
	v_fmamk_f32 v38, v39, 0xbf788fa5, v21
	v_add_f32_e32 v42, v48, v42
	v_fma_f32 v24, 0x3f116cb1, v39, -v24
	v_mul_f32_e32 v40, 0xbf788fa5, v9
	v_add_f32_e32 v22, v22, v27
	v_add_f32_e32 v27, v38, v32
	v_fma_f32 v21, 0xbf788fa5, v39, -v21
	v_mul_f32_e32 v32, 0x3f62ad3f, v9
	v_add_f32_e32 v42, v45, v42
	v_add_f32_e32 v25, v25, v28
	;; [unrolled: 1-line block ×3, first 2 shown]
	v_fmamk_f32 v28, v8, 0xbe750f2a, v40
	v_mul_f32_e32 v31, 0x3eedf032, v36
	v_fmac_f32_e32 v40, 0x3e750f2a, v8
	v_add_f32_e32 v21, v21, v23
	v_fmamk_f32 v23, v8, 0xbeedf032, v32
	v_mul_f32_e32 v36, 0xbf6f5d39, v36
	v_add_f32_e32 v28, v28, v33
	v_fmamk_f32 v33, v39, 0x3f62ad3f, v31
	v_add_f32_e32 v38, v40, v42
	v_fma_f32 v31, 0x3f62ad3f, v39, -v31
	v_add_f32_e32 v23, v23, v29
	v_fmamk_f32 v29, v39, 0xbeb58ec6, v36
	v_mul_f32_e32 v9, 0xbeb58ec6, v9
	v_add_f32_e32 v40, v6, v7
	v_fmac_f32_e32 v32, 0x3eedf032, v8
	v_add_f32_e32 v31, v31, v34
	v_sub_f32_e32 v34, v6, v7
	v_add_f32_e32 v29, v29, v30
	v_fmamk_f32 v30, v8, 0x3f6f5d39, v9
	v_fma_f32 v6, 0xbeb58ec6, v39, -v36
	v_fmac_f32_e32 v9, 0xbf6f5d39, v8
	v_sub_f32_e32 v36, v4, v5
	v_mul_f32_e32 v7, 0xbf788fa5, v40
	v_add_f32_e32 v33, v33, v35
	v_add_f32_e32 v32, v32, v37
	;; [unrolled: 1-line block ×3, first 2 shown]
	v_mul_f32_e32 v37, 0xbe750f2a, v34
	v_add_f32_e32 v39, v9, v11
	v_fmamk_f32 v5, v36, 0x3e750f2a, v7
	v_mul_f32_e32 v9, 0x3eedf032, v34
	v_mul_f32_e32 v11, 0x3f62ad3f, v40
	v_fmamk_f32 v4, v35, 0xbf788fa5, v37
	v_add_f32_e32 v26, v30, v26
	v_add_f32_e32 v30, v6, v10
	v_fma_f32 v6, 0xbf788fa5, v35, -v37
	v_add_f32_e32 v5, v5, v13
	v_fmamk_f32 v8, v35, 0x3f62ad3f, v9
	v_fmamk_f32 v10, v36, 0xbeedf032, v11
	v_mul_f32_e32 v13, 0xbf29c268, v34
	v_add_f32_e32 v4, v4, v12
	v_fmac_f32_e32 v7, 0xbe750f2a, v36
	v_add_f32_e32 v6, v6, v17
	v_add_f32_e32 v8, v8, v14
	v_fma_f32 v12, 0x3f62ad3f, v35, -v9
	v_fmac_f32_e32 v11, 0x3eedf032, v36
	v_add_f32_e32 v9, v10, v16
	v_fmamk_f32 v14, v35, 0xbf3f9e67, v13
	v_mul_f32_e32 v16, 0xbf3f9e67, v40
	v_mul_f32_e32 v17, 0x3f52af12, v34
	v_add_f32_e32 v7, v7, v18
	v_add_f32_e32 v10, v12, v15
	;; [unrolled: 1-line block ×4, first 2 shown]
	v_fmamk_f32 v14, v36, 0x3f29c268, v16
	v_fma_f32 v15, 0xbf3f9e67, v35, -v13
	v_fmac_f32_e32 v16, 0xbf29c268, v36
	v_fmamk_f32 v18, v35, 0x3f116cb1, v17
	v_mul_f32_e32 v19, 0x3f116cb1, v40
	v_add_f32_e32 v13, v14, v25
	v_add_f32_e32 v14, v15, v24
	;; [unrolled: 1-line block ×4, first 2 shown]
	v_fmamk_f32 v18, v36, 0xbf52af12, v19
	v_fma_f32 v20, 0x3f116cb1, v35, -v17
	v_mul_f32_e32 v37, 0xbeb58ec6, v40
	v_mul_f32_e32 v22, 0xbf6f5d39, v34
	;; [unrolled: 1-line block ×3, first 2 shown]
	v_add_f32_e32 v17, v18, v28
	v_add_f32_e32 v18, v20, v21
	v_fmamk_f32 v21, v36, 0x3f6f5d39, v37
	v_mul_f32_e32 v27, 0x3df6dbef, v40
	v_fmamk_f32 v20, v35, 0xbeb58ec6, v22
	v_fma_f32 v28, 0x3df6dbef, v35, -v24
	v_fmac_f32_e32 v19, 0x3f52af12, v36
	v_add_f32_e32 v21, v21, v23
	v_fmamk_f32 v23, v35, 0x3df6dbef, v24
	v_fmamk_f32 v25, v36, 0xbf7e222b, v27
	v_fmac_f32_e32 v27, 0x3f7e222b, v36
	v_fma_f32 v22, 0xbeb58ec6, v35, -v22
	v_fmac_f32_e32 v37, 0xbf6f5d39, v36
	v_add_f32_e32 v20, v20, v33
	v_add_f32_e32 v24, v23, v29
	;; [unrolled: 1-line block ×8, first 2 shown]
	ds_write2_b64 v106, v[0:1], v[4:5] offset1:65
	ds_write2_b64 v106, v[8:9], v[12:13] offset0:130 offset1:195
	ds_write2_b64 v3, v[16:17], v[20:21] offset0:4 offset1:69
	;; [unrolled: 1-line block ×5, first 2 shown]
	ds_write_b64 v106, v[6:7] offset:6240
	s_waitcnt lgkmcnt(0)
	s_barrier
	buffer_gl0_inv
	ds_read2_b64 v[4:7], v106 offset1:65
	ds_read2_b64 v[8:11], v106 offset0:130 offset1:195
	v_mad_u64_u32 v[12:13], null, s10, v84, 0
	v_mad_u64_u32 v[16:17], null, s8, v105, 0
	ds_read_b64 v[28:29], v106 offset:6240
	s_waitcnt lgkmcnt(2)
	v_mul_f32_e32 v0, v96, v5
	v_mul_f32_e32 v1, v96, v4
	;; [unrolled: 1-line block ×4, first 2 shown]
	s_waitcnt lgkmcnt(1)
	v_mul_f32_e32 v22, v94, v9
	v_fmac_f32_e32 v0, v95, v4
	v_fma_f32 v4, v95, v5, -v1
	v_fmac_f32_e32 v18, v91, v6
	v_fma_f32 v6, v91, v7, -v19
	v_mul_f32_e32 v7, v94, v8
	v_cvt_f64_f32_e32 v[0:1], v0
	v_cvt_f64_f32_e32 v[4:5], v4
	v_fmac_f32_e32 v22, v93, v8
	v_cvt_f64_f32_e32 v[20:21], v6
	v_fma_f32 v6, v93, v9, -v7
	v_cvt_f64_f32_e32 v[18:19], v18
	v_mul_f32_e32 v25, v90, v10
	v_cvt_f64_f32_e32 v[8:9], v22
	s_waitcnt lgkmcnt(0)
	v_mul_f32_e32 v39, v86, v29
	v_fmac_f32_e32 v39, v85, v28
	v_mul_f64 v[0:1], v[0:1], s[0:1]
	v_mul_f64 v[14:15], v[4:5], s[0:1]
	v_cvt_f32_f64_e32 v0, v[0:1]
	v_mad_u64_u32 v[4:5], null, s11, v84, v[13:14]
	v_mov_b32_e32 v5, v17
	v_cvt_f32_f64_e32 v1, v[14:15]
	v_mul_f64 v[14:15], v[18:19], s[0:1]
	v_mul_f64 v[18:19], v[8:9], s[0:1]
	v_fma_f32 v8, v89, v11, -v25
	v_mad_u64_u32 v[22:23], null, s9, v105, v[5:6]
	v_mov_b32_e32 v13, v4
	v_cvt_f64_f32_e32 v[23:24], v6
	ds_read2_b64 v[4:7], v3 offset0:4 offset1:69
	v_lshlrev_b64 v[12:13], 3, v[12:13]
	v_mov_b32_e32 v17, v22
	v_mul_f32_e32 v22, v90, v11
	v_add_co_u32 v26, vcc_lo, s4, v12
	v_add_co_ci_u32_e32 v27, vcc_lo, s5, v13, vcc_lo
	v_lshlrev_b64 v[12:13], 3, v[16:17]
	v_mul_f64 v[16:17], v[20:21], s[0:1]
	v_fmac_f32_e32 v22, v89, v10
	s_waitcnt lgkmcnt(0)
	v_mul_f32_e32 v9, v102, v5
	v_mul_f32_e32 v10, v102, v4
	v_mul_f64 v[20:21], v[23:24], s[0:1]
	v_cvt_f64_f32_e32 v[22:23], v22
	v_cvt_f64_f32_e32 v[24:25], v8
	v_fmac_f32_e32 v9, v101, v4
	v_add_co_u32 v4, vcc_lo, v26, v12
	v_fma_f32 v8, v101, v5, -v10
	v_add_co_ci_u32_e32 v5, vcc_lo, v27, v13, vcc_lo
	v_cvt_f64_f32_e32 v[12:13], v9
	v_cvt_f64_f32_e32 v[26:27], v8
	ds_read2_b64 v[8:11], v3 offset0:134 offset1:199
	global_store_dwordx2 v[4:5], v[0:1], off
	v_cvt_f32_f64_e32 v0, v[14:15]
	v_cvt_f32_f64_e32 v1, v[16:17]
	;; [unrolled: 1-line block ×3, first 2 shown]
	v_add_co_u32 v3, vcc_lo, v4, s3
	v_add_co_ci_u32_e32 v4, vcc_lo, s2, v5, vcc_lo
	v_mul_f32_e32 v5, v100, v6
	v_cvt_f32_f64_e32 v15, v[20:21]
	v_mul_f64 v[16:17], v[22:23], s[0:1]
	v_mul_f64 v[18:19], v[24:25], s[0:1]
	v_mul_f32_e32 v24, v100, v7
	v_fma_f32 v5, v99, v7, -v5
	v_add_co_u32 v22, vcc_lo, v3, s3
	v_add_co_ci_u32_e32 v23, vcc_lo, s2, v4, vcc_lo
	v_mul_f64 v[12:13], v[12:13], s[0:1]
	v_fmac_f32_e32 v24, v99, v6
	s_waitcnt lgkmcnt(0)
	v_mul_f32_e32 v6, v98, v9
	v_mul_f64 v[20:21], v[26:27], s[0:1]
	v_mul_f32_e32 v26, v98, v8
	global_store_dwordx2 v[3:4], v[0:1], off
	v_fmac_f32_e32 v6, v97, v8
	v_cvt_f64_f32_e32 v[0:1], v5
	v_fma_f32 v9, v97, v9, -v26
	v_cvt_f64_f32_e32 v[24:25], v24
	v_cvt_f64_f32_e32 v[7:8], v6
	ds_read2_b64 v[3:6], v2 offset0:8 offset1:73
	v_cvt_f64_f32_e32 v[26:27], v9
	global_store_dwordx2 v[22:23], v[14:15], off
	v_cvt_f32_f64_e32 v16, v[16:17]
	v_cvt_f32_f64_e32 v17, v[18:19]
	v_add_co_u32 v18, vcc_lo, v22, s3
	v_mul_f32_e32 v9, v88, v10
	v_add_co_ci_u32_e32 v19, vcc_lo, s2, v23, vcc_lo
	v_cvt_f32_f64_e32 v22, v[12:13]
	ds_read2_b64 v[12:15], v2 offset0:138 offset1:203
	v_mul_f32_e32 v2, v88, v11
	v_fma_f32 v11, v87, v11, -v9
	v_cvt_f32_f64_e32 v23, v[20:21]
	v_add_co_u32 v20, vcc_lo, v18, s3
	v_fmac_f32_e32 v2, v87, v10
	v_cvt_f64_f32_e32 v[30:31], v11
	v_mul_f64 v[0:1], v[0:1], s[0:1]
	s_waitcnt lgkmcnt(1)
	v_mul_f32_e32 v33, v79, v5
	v_mul_f32_e32 v32, v79, v6
	;; [unrolled: 1-line block ×3, first 2 shown]
	v_mul_f64 v[9:10], v[26:27], s[0:1]
	v_cvt_f64_f32_e32 v[26:27], v2
	v_fma_f32 v6, v78, v6, -v33
	v_mul_f32_e32 v2, v81, v4
	v_fma_f32 v4, v80, v4, -v11
	v_fmac_f32_e32 v32, v78, v5
	v_mul_f64 v[7:8], v[7:8], s[0:1]
	v_cvt_f64_f32_e32 v[34:35], v6
	s_waitcnt lgkmcnt(0)
	v_mul_f32_e32 v36, v77, v13
	v_mul_f32_e32 v6, v77, v12
	;; [unrolled: 1-line block ×4, first 2 shown]
	v_fmac_f32_e32 v2, v80, v3
	v_fmac_f32_e32 v36, v76, v12
	v_mul_f32_e32 v12, v86, v28
	v_fma_f32 v6, v76, v13, -v6
	v_fmac_f32_e32 v38, v82, v14
	v_fma_f32 v15, v82, v15, -v11
	v_cvt_f64_f32_e32 v[2:3], v2
	v_cvt_f64_f32_e32 v[4:5], v4
	v_fma_f32 v40, v85, v29, -v12
	v_cvt_f64_f32_e32 v[32:33], v32
	v_mul_f64 v[24:25], v[24:25], s[0:1]
	v_cvt_f64_f32_e32 v[36:37], v36
	v_cvt_f64_f32_e32 v[11:12], v6
	;; [unrolled: 1-line block ×6, first 2 shown]
	v_add_co_ci_u32_e32 v21, vcc_lo, s2, v19, vcc_lo
	global_store_dwordx2 v[18:19], v[16:17], off
	global_store_dwordx2 v[20:21], v[22:23], off
	v_cvt_f32_f64_e32 v16, v[0:1]
	v_mul_f64 v[0:1], v[26:27], s[0:1]
	v_mul_f64 v[17:18], v[30:31], s[0:1]
	v_add_co_u32 v19, vcc_lo, v20, s3
	v_add_co_ci_u32_e32 v20, vcc_lo, s2, v21, vcc_lo
	v_mul_f64 v[2:3], v[2:3], s[0:1]
	v_mul_f64 v[4:5], v[4:5], s[0:1]
	v_cvt_f32_f64_e32 v6, v[7:8]
	v_cvt_f32_f64_e32 v7, v[9:10]
	v_mul_f64 v[8:9], v[32:33], s[0:1]
	v_mul_f64 v[21:22], v[34:35], s[0:1]
	v_cvt_f32_f64_e32 v15, v[24:25]
	v_mul_f64 v[23:24], v[36:37], s[0:1]
	v_mul_f64 v[10:11], v[11:12], s[0:1]
	;; [unrolled: 1-line block ×6, first 2 shown]
	v_add_co_u32 v31, vcc_lo, v19, s3
	v_add_co_ci_u32_e32 v32, vcc_lo, s2, v20, vcc_lo
	v_cvt_f32_f64_e32 v0, v[0:1]
	v_cvt_f32_f64_e32 v1, v[17:18]
	v_add_co_u32 v17, vcc_lo, v31, s3
	v_add_co_ci_u32_e32 v18, vcc_lo, s2, v32, vcc_lo
	v_cvt_f32_f64_e32 v2, v[2:3]
	v_cvt_f32_f64_e32 v3, v[4:5]
	;; [unrolled: 4-line block ×3, first 2 shown]
	v_cvt_f32_f64_e32 v21, v[23:24]
	v_cvt_f32_f64_e32 v22, v[10:11]
	;; [unrolled: 1-line block ×6, first 2 shown]
	v_add_co_u32 v23, vcc_lo, v4, s3
	v_add_co_ci_u32_e32 v24, vcc_lo, s2, v5, vcc_lo
	global_store_dwordx2 v[19:20], v[15:16], off
	v_add_co_u32 v14, vcc_lo, v23, s3
	v_add_co_ci_u32_e32 v15, vcc_lo, s2, v24, vcc_lo
	global_store_dwordx2 v[31:32], v[6:7], off
	;; [unrolled: 3-line block ×4, first 2 shown]
	global_store_dwordx2 v[23:24], v[8:9], off
	global_store_dwordx2 v[14:15], v[21:22], off
	;; [unrolled: 1-line block ×4, first 2 shown]
.LBB0_10:
	s_endpgm
	.section	.rodata,"a",@progbits
	.p2align	6, 0x0
	.amdhsa_kernel bluestein_single_back_len845_dim1_sp_op_CI_CI
		.amdhsa_group_segment_fixed_size 20280
		.amdhsa_private_segment_fixed_size 0
		.amdhsa_kernarg_size 104
		.amdhsa_user_sgpr_count 6
		.amdhsa_user_sgpr_private_segment_buffer 1
		.amdhsa_user_sgpr_dispatch_ptr 0
		.amdhsa_user_sgpr_queue_ptr 0
		.amdhsa_user_sgpr_kernarg_segment_ptr 1
		.amdhsa_user_sgpr_dispatch_id 0
		.amdhsa_user_sgpr_flat_scratch_init 0
		.amdhsa_user_sgpr_private_segment_size 0
		.amdhsa_wavefront_size32 1
		.amdhsa_uses_dynamic_stack 0
		.amdhsa_system_sgpr_private_segment_wavefront_offset 0
		.amdhsa_system_sgpr_workgroup_id_x 1
		.amdhsa_system_sgpr_workgroup_id_y 0
		.amdhsa_system_sgpr_workgroup_id_z 0
		.amdhsa_system_sgpr_workgroup_info 0
		.amdhsa_system_vgpr_workitem_id 0
		.amdhsa_next_free_vgpr 234
		.amdhsa_next_free_sgpr 20
		.amdhsa_reserve_vcc 1
		.amdhsa_reserve_flat_scratch 0
		.amdhsa_float_round_mode_32 0
		.amdhsa_float_round_mode_16_64 0
		.amdhsa_float_denorm_mode_32 3
		.amdhsa_float_denorm_mode_16_64 3
		.amdhsa_dx10_clamp 1
		.amdhsa_ieee_mode 1
		.amdhsa_fp16_overflow 0
		.amdhsa_workgroup_processor_mode 1
		.amdhsa_memory_ordered 1
		.amdhsa_forward_progress 0
		.amdhsa_shared_vgpr_count 0
		.amdhsa_exception_fp_ieee_invalid_op 0
		.amdhsa_exception_fp_denorm_src 0
		.amdhsa_exception_fp_ieee_div_zero 0
		.amdhsa_exception_fp_ieee_overflow 0
		.amdhsa_exception_fp_ieee_underflow 0
		.amdhsa_exception_fp_ieee_inexact 0
		.amdhsa_exception_int_div_zero 0
	.end_amdhsa_kernel
	.text
.Lfunc_end0:
	.size	bluestein_single_back_len845_dim1_sp_op_CI_CI, .Lfunc_end0-bluestein_single_back_len845_dim1_sp_op_CI_CI
                                        ; -- End function
	.section	.AMDGPU.csdata,"",@progbits
; Kernel info:
; codeLenInByte = 18240
; NumSgprs: 22
; NumVgprs: 234
; ScratchSize: 0
; MemoryBound: 0
; FloatMode: 240
; IeeeMode: 1
; LDSByteSize: 20280 bytes/workgroup (compile time only)
; SGPRBlocks: 2
; VGPRBlocks: 29
; NumSGPRsForWavesPerEU: 22
; NumVGPRsForWavesPerEU: 234
; Occupancy: 4
; WaveLimiterHint : 1
; COMPUTE_PGM_RSRC2:SCRATCH_EN: 0
; COMPUTE_PGM_RSRC2:USER_SGPR: 6
; COMPUTE_PGM_RSRC2:TRAP_HANDLER: 0
; COMPUTE_PGM_RSRC2:TGID_X_EN: 1
; COMPUTE_PGM_RSRC2:TGID_Y_EN: 0
; COMPUTE_PGM_RSRC2:TGID_Z_EN: 0
; COMPUTE_PGM_RSRC2:TIDIG_COMP_CNT: 0
	.text
	.p2alignl 6, 3214868480
	.fill 48, 4, 3214868480
	.type	__hip_cuid_f193294a5efda096,@object ; @__hip_cuid_f193294a5efda096
	.section	.bss,"aw",@nobits
	.globl	__hip_cuid_f193294a5efda096
__hip_cuid_f193294a5efda096:
	.byte	0                               ; 0x0
	.size	__hip_cuid_f193294a5efda096, 1

	.ident	"AMD clang version 19.0.0git (https://github.com/RadeonOpenCompute/llvm-project roc-6.4.0 25133 c7fe45cf4b819c5991fe208aaa96edf142730f1d)"
	.section	".note.GNU-stack","",@progbits
	.addrsig
	.addrsig_sym __hip_cuid_f193294a5efda096
	.amdgpu_metadata
---
amdhsa.kernels:
  - .args:
      - .actual_access:  read_only
        .address_space:  global
        .offset:         0
        .size:           8
        .value_kind:     global_buffer
      - .actual_access:  read_only
        .address_space:  global
        .offset:         8
        .size:           8
        .value_kind:     global_buffer
      - .actual_access:  read_only
        .address_space:  global
        .offset:         16
        .size:           8
        .value_kind:     global_buffer
      - .actual_access:  read_only
        .address_space:  global
        .offset:         24
        .size:           8
        .value_kind:     global_buffer
      - .actual_access:  read_only
        .address_space:  global
        .offset:         32
        .size:           8
        .value_kind:     global_buffer
      - .offset:         40
        .size:           8
        .value_kind:     by_value
      - .address_space:  global
        .offset:         48
        .size:           8
        .value_kind:     global_buffer
      - .address_space:  global
        .offset:         56
        .size:           8
        .value_kind:     global_buffer
      - .address_space:  global
        .offset:         64
        .size:           8
        .value_kind:     global_buffer
      - .address_space:  global
        .offset:         72
        .size:           8
        .value_kind:     global_buffer
      - .offset:         80
        .size:           4
        .value_kind:     by_value
      - .address_space:  global
        .offset:         88
        .size:           8
        .value_kind:     global_buffer
      - .address_space:  global
        .offset:         96
        .size:           8
        .value_kind:     global_buffer
    .group_segment_fixed_size: 20280
    .kernarg_segment_align: 8
    .kernarg_segment_size: 104
    .language:       OpenCL C
    .language_version:
      - 2
      - 0
    .max_flat_workgroup_size: 195
    .name:           bluestein_single_back_len845_dim1_sp_op_CI_CI
    .private_segment_fixed_size: 0
    .sgpr_count:     22
    .sgpr_spill_count: 0
    .symbol:         bluestein_single_back_len845_dim1_sp_op_CI_CI.kd
    .uniform_work_group_size: 1
    .uses_dynamic_stack: false
    .vgpr_count:     234
    .vgpr_spill_count: 0
    .wavefront_size: 32
    .workgroup_processor_mode: 1
amdhsa.target:   amdgcn-amd-amdhsa--gfx1030
amdhsa.version:
  - 1
  - 2
...

	.end_amdgpu_metadata
